;; amdgpu-corpus repo=ROCm/rocFFT kind=compiled arch=gfx1201 opt=O3
	.text
	.amdgcn_target "amdgcn-amd-amdhsa--gfx1201"
	.amdhsa_code_object_version 6
	.protected	fft_rtc_back_len2023_factors_17_7_17_wgs_119_tpt_119_halfLds_dp_ip_CI_sbrr_dirReg ; -- Begin function fft_rtc_back_len2023_factors_17_7_17_wgs_119_tpt_119_halfLds_dp_ip_CI_sbrr_dirReg
	.globl	fft_rtc_back_len2023_factors_17_7_17_wgs_119_tpt_119_halfLds_dp_ip_CI_sbrr_dirReg
	.p2align	8
	.type	fft_rtc_back_len2023_factors_17_7_17_wgs_119_tpt_119_halfLds_dp_ip_CI_sbrr_dirReg,@function
fft_rtc_back_len2023_factors_17_7_17_wgs_119_tpt_119_halfLds_dp_ip_CI_sbrr_dirReg: ; @fft_rtc_back_len2023_factors_17_7_17_wgs_119_tpt_119_halfLds_dp_ip_CI_sbrr_dirReg
; %bb.0:
	s_clause 0x2
	s_load_b64 s[12:13], s[0:1], 0x18
	s_load_b128 s[4:7], s[0:1], 0x0
	s_load_b64 s[10:11], s[0:1], 0x50
	v_mul_u32_u24_e32 v1, 0x227, v0
	v_mov_b32_e32 v3, 0
	s_delay_alu instid0(VALU_DEP_2) | instskip(NEXT) | instid1(VALU_DEP_1)
	v_lshrrev_b32_e32 v1, 16, v1
	v_add_nc_u32_e32 v5, ttmp9, v1
	v_mov_b32_e32 v1, 0
	v_mov_b32_e32 v2, 0
	;; [unrolled: 1-line block ×3, first 2 shown]
	s_wait_kmcnt 0x0
	s_load_b64 s[8:9], s[12:13], 0x0
	v_cmp_lt_u64_e64 s2, s[6:7], 2
	s_delay_alu instid0(VALU_DEP_1)
	s_and_b32 vcc_lo, exec_lo, s2
	s_cbranch_vccnz .LBB0_8
; %bb.1:
	s_load_b64 s[2:3], s[0:1], 0x10
	v_mov_b32_e32 v1, 0
	v_mov_b32_e32 v2, 0
	s_add_nc_u64 s[14:15], s[12:13], 8
	s_mov_b64 s[16:17], 1
	s_wait_kmcnt 0x0
	s_add_nc_u64 s[18:19], s[2:3], 8
	s_mov_b32 s3, 0
.LBB0_2:                                ; =>This Inner Loop Header: Depth=1
	s_load_b64 s[20:21], s[18:19], 0x0
                                        ; implicit-def: $vgpr7_vgpr8
	s_mov_b32 s2, exec_lo
	s_wait_kmcnt 0x0
	v_or_b32_e32 v4, s21, v6
	s_delay_alu instid0(VALU_DEP_1)
	v_cmpx_ne_u64_e32 0, v[3:4]
	s_wait_alu 0xfffe
	s_xor_b32 s22, exec_lo, s2
	s_cbranch_execz .LBB0_4
; %bb.3:                                ;   in Loop: Header=BB0_2 Depth=1
	s_cvt_f32_u32 s2, s20
	s_cvt_f32_u32 s23, s21
	s_sub_nc_u64 s[26:27], 0, s[20:21]
	s_wait_alu 0xfffe
	s_delay_alu instid0(SALU_CYCLE_1) | instskip(SKIP_1) | instid1(SALU_CYCLE_2)
	s_fmamk_f32 s2, s23, 0x4f800000, s2
	s_wait_alu 0xfffe
	v_s_rcp_f32 s2, s2
	s_delay_alu instid0(TRANS32_DEP_1) | instskip(SKIP_1) | instid1(SALU_CYCLE_2)
	s_mul_f32 s2, s2, 0x5f7ffffc
	s_wait_alu 0xfffe
	s_mul_f32 s23, s2, 0x2f800000
	s_wait_alu 0xfffe
	s_delay_alu instid0(SALU_CYCLE_2) | instskip(SKIP_1) | instid1(SALU_CYCLE_2)
	s_trunc_f32 s23, s23
	s_wait_alu 0xfffe
	s_fmamk_f32 s2, s23, 0xcf800000, s2
	s_cvt_u32_f32 s25, s23
	s_wait_alu 0xfffe
	s_delay_alu instid0(SALU_CYCLE_1) | instskip(SKIP_1) | instid1(SALU_CYCLE_2)
	s_cvt_u32_f32 s24, s2
	s_wait_alu 0xfffe
	s_mul_u64 s[28:29], s[26:27], s[24:25]
	s_wait_alu 0xfffe
	s_mul_hi_u32 s31, s24, s29
	s_mul_i32 s30, s24, s29
	s_mul_hi_u32 s2, s24, s28
	s_mul_i32 s33, s25, s28
	s_wait_alu 0xfffe
	s_add_nc_u64 s[30:31], s[2:3], s[30:31]
	s_mul_hi_u32 s23, s25, s28
	s_mul_hi_u32 s34, s25, s29
	s_add_co_u32 s2, s30, s33
	s_wait_alu 0xfffe
	s_add_co_ci_u32 s2, s31, s23
	s_mul_i32 s28, s25, s29
	s_add_co_ci_u32 s29, s34, 0
	s_wait_alu 0xfffe
	s_add_nc_u64 s[28:29], s[2:3], s[28:29]
	s_wait_alu 0xfffe
	v_add_co_u32 v4, s2, s24, s28
	s_delay_alu instid0(VALU_DEP_1) | instskip(SKIP_1) | instid1(VALU_DEP_1)
	s_cmp_lg_u32 s2, 0
	s_add_co_ci_u32 s25, s25, s29
	v_readfirstlane_b32 s24, v4
	s_wait_alu 0xfffe
	s_delay_alu instid0(VALU_DEP_1)
	s_mul_u64 s[26:27], s[26:27], s[24:25]
	s_wait_alu 0xfffe
	s_mul_hi_u32 s29, s24, s27
	s_mul_i32 s28, s24, s27
	s_mul_hi_u32 s2, s24, s26
	s_mul_i32 s30, s25, s26
	s_wait_alu 0xfffe
	s_add_nc_u64 s[28:29], s[2:3], s[28:29]
	s_mul_hi_u32 s23, s25, s26
	s_mul_hi_u32 s24, s25, s27
	s_wait_alu 0xfffe
	s_add_co_u32 s2, s28, s30
	s_add_co_ci_u32 s2, s29, s23
	s_mul_i32 s26, s25, s27
	s_add_co_ci_u32 s27, s24, 0
	s_wait_alu 0xfffe
	s_add_nc_u64 s[26:27], s[2:3], s[26:27]
	s_wait_alu 0xfffe
	v_add_co_u32 v4, s2, v4, s26
	s_delay_alu instid0(VALU_DEP_1) | instskip(SKIP_1) | instid1(VALU_DEP_1)
	s_cmp_lg_u32 s2, 0
	s_add_co_ci_u32 s2, s25, s27
	v_mul_hi_u32 v13, v5, v4
	s_wait_alu 0xfffe
	v_mad_co_u64_u32 v[7:8], null, v5, s2, 0
	v_mad_co_u64_u32 v[9:10], null, v6, v4, 0
	;; [unrolled: 1-line block ×3, first 2 shown]
	s_delay_alu instid0(VALU_DEP_3) | instskip(SKIP_1) | instid1(VALU_DEP_4)
	v_add_co_u32 v4, vcc_lo, v13, v7
	s_wait_alu 0xfffd
	v_add_co_ci_u32_e32 v7, vcc_lo, 0, v8, vcc_lo
	s_delay_alu instid0(VALU_DEP_2) | instskip(SKIP_1) | instid1(VALU_DEP_2)
	v_add_co_u32 v4, vcc_lo, v4, v9
	s_wait_alu 0xfffd
	v_add_co_ci_u32_e32 v4, vcc_lo, v7, v10, vcc_lo
	s_wait_alu 0xfffd
	v_add_co_ci_u32_e32 v7, vcc_lo, 0, v12, vcc_lo
	s_delay_alu instid0(VALU_DEP_2) | instskip(SKIP_1) | instid1(VALU_DEP_2)
	v_add_co_u32 v4, vcc_lo, v4, v11
	s_wait_alu 0xfffd
	v_add_co_ci_u32_e32 v9, vcc_lo, 0, v7, vcc_lo
	s_delay_alu instid0(VALU_DEP_2) | instskip(SKIP_1) | instid1(VALU_DEP_3)
	v_mul_lo_u32 v10, s21, v4
	v_mad_co_u64_u32 v[7:8], null, s20, v4, 0
	v_mul_lo_u32 v11, s20, v9
	s_delay_alu instid0(VALU_DEP_2) | instskip(NEXT) | instid1(VALU_DEP_2)
	v_sub_co_u32 v7, vcc_lo, v5, v7
	v_add3_u32 v8, v8, v11, v10
	s_delay_alu instid0(VALU_DEP_1) | instskip(SKIP_1) | instid1(VALU_DEP_1)
	v_sub_nc_u32_e32 v10, v6, v8
	s_wait_alu 0xfffd
	v_subrev_co_ci_u32_e64 v10, s2, s21, v10, vcc_lo
	v_add_co_u32 v11, s2, v4, 2
	s_wait_alu 0xf1ff
	v_add_co_ci_u32_e64 v12, s2, 0, v9, s2
	v_sub_co_u32 v13, s2, v7, s20
	v_sub_co_ci_u32_e32 v8, vcc_lo, v6, v8, vcc_lo
	s_wait_alu 0xf1ff
	v_subrev_co_ci_u32_e64 v10, s2, 0, v10, s2
	s_delay_alu instid0(VALU_DEP_3) | instskip(NEXT) | instid1(VALU_DEP_3)
	v_cmp_le_u32_e32 vcc_lo, s20, v13
	v_cmp_eq_u32_e64 s2, s21, v8
	s_wait_alu 0xfffd
	v_cndmask_b32_e64 v13, 0, -1, vcc_lo
	v_cmp_le_u32_e32 vcc_lo, s21, v10
	s_wait_alu 0xfffd
	v_cndmask_b32_e64 v14, 0, -1, vcc_lo
	v_cmp_le_u32_e32 vcc_lo, s20, v7
	;; [unrolled: 3-line block ×3, first 2 shown]
	s_wait_alu 0xfffd
	v_cndmask_b32_e64 v15, 0, -1, vcc_lo
	v_cmp_eq_u32_e32 vcc_lo, s21, v10
	s_wait_alu 0xf1ff
	s_delay_alu instid0(VALU_DEP_2)
	v_cndmask_b32_e64 v7, v15, v7, s2
	s_wait_alu 0xfffd
	v_cndmask_b32_e32 v10, v14, v13, vcc_lo
	v_add_co_u32 v13, vcc_lo, v4, 1
	s_wait_alu 0xfffd
	v_add_co_ci_u32_e32 v14, vcc_lo, 0, v9, vcc_lo
	s_delay_alu instid0(VALU_DEP_3) | instskip(SKIP_2) | instid1(VALU_DEP_3)
	v_cmp_ne_u32_e32 vcc_lo, 0, v10
	s_wait_alu 0xfffd
	v_cndmask_b32_e32 v10, v13, v11, vcc_lo
	v_cndmask_b32_e32 v8, v14, v12, vcc_lo
	v_cmp_ne_u32_e32 vcc_lo, 0, v7
	s_wait_alu 0xfffd
	s_delay_alu instid0(VALU_DEP_2)
	v_dual_cndmask_b32 v7, v4, v10 :: v_dual_cndmask_b32 v8, v9, v8
.LBB0_4:                                ;   in Loop: Header=BB0_2 Depth=1
	s_wait_alu 0xfffe
	s_and_not1_saveexec_b32 s2, s22
	s_cbranch_execz .LBB0_6
; %bb.5:                                ;   in Loop: Header=BB0_2 Depth=1
	v_cvt_f32_u32_e32 v4, s20
	s_sub_co_i32 s22, 0, s20
	s_delay_alu instid0(VALU_DEP_1) | instskip(NEXT) | instid1(TRANS32_DEP_1)
	v_rcp_iflag_f32_e32 v4, v4
	v_mul_f32_e32 v4, 0x4f7ffffe, v4
	s_delay_alu instid0(VALU_DEP_1) | instskip(SKIP_1) | instid1(VALU_DEP_1)
	v_cvt_u32_f32_e32 v4, v4
	s_wait_alu 0xfffe
	v_mul_lo_u32 v7, s22, v4
	s_delay_alu instid0(VALU_DEP_1) | instskip(NEXT) | instid1(VALU_DEP_1)
	v_mul_hi_u32 v7, v4, v7
	v_add_nc_u32_e32 v4, v4, v7
	s_delay_alu instid0(VALU_DEP_1) | instskip(NEXT) | instid1(VALU_DEP_1)
	v_mul_hi_u32 v4, v5, v4
	v_mul_lo_u32 v7, v4, s20
	v_add_nc_u32_e32 v8, 1, v4
	s_delay_alu instid0(VALU_DEP_2) | instskip(NEXT) | instid1(VALU_DEP_1)
	v_sub_nc_u32_e32 v7, v5, v7
	v_subrev_nc_u32_e32 v9, s20, v7
	v_cmp_le_u32_e32 vcc_lo, s20, v7
	s_wait_alu 0xfffd
	s_delay_alu instid0(VALU_DEP_2) | instskip(NEXT) | instid1(VALU_DEP_1)
	v_dual_cndmask_b32 v7, v7, v9 :: v_dual_cndmask_b32 v4, v4, v8
	v_cmp_le_u32_e32 vcc_lo, s20, v7
	s_delay_alu instid0(VALU_DEP_2) | instskip(SKIP_1) | instid1(VALU_DEP_1)
	v_add_nc_u32_e32 v8, 1, v4
	s_wait_alu 0xfffd
	v_dual_cndmask_b32 v7, v4, v8 :: v_dual_mov_b32 v8, v3
.LBB0_6:                                ;   in Loop: Header=BB0_2 Depth=1
	s_wait_alu 0xfffe
	s_or_b32 exec_lo, exec_lo, s2
	s_load_b64 s[22:23], s[14:15], 0x0
	s_delay_alu instid0(VALU_DEP_1)
	v_mul_lo_u32 v4, v8, s20
	v_mul_lo_u32 v11, v7, s21
	v_mad_co_u64_u32 v[9:10], null, v7, s20, 0
	s_add_nc_u64 s[16:17], s[16:17], 1
	s_add_nc_u64 s[14:15], s[14:15], 8
	s_wait_alu 0xfffe
	v_cmp_ge_u64_e64 s2, s[16:17], s[6:7]
	s_add_nc_u64 s[18:19], s[18:19], 8
	s_delay_alu instid0(VALU_DEP_2) | instskip(NEXT) | instid1(VALU_DEP_3)
	v_add3_u32 v4, v10, v11, v4
	v_sub_co_u32 v5, vcc_lo, v5, v9
	s_wait_alu 0xfffd
	s_delay_alu instid0(VALU_DEP_2) | instskip(SKIP_3) | instid1(VALU_DEP_2)
	v_sub_co_ci_u32_e32 v4, vcc_lo, v6, v4, vcc_lo
	s_and_b32 vcc_lo, exec_lo, s2
	s_wait_kmcnt 0x0
	v_mul_lo_u32 v6, s23, v5
	v_mul_lo_u32 v4, s22, v4
	v_mad_co_u64_u32 v[1:2], null, s22, v5, v[1:2]
	s_delay_alu instid0(VALU_DEP_1)
	v_add3_u32 v2, v6, v2, v4
	s_wait_alu 0xfffe
	s_cbranch_vccnz .LBB0_9
; %bb.7:                                ;   in Loop: Header=BB0_2 Depth=1
	v_dual_mov_b32 v5, v7 :: v_dual_mov_b32 v6, v8
	s_branch .LBB0_2
.LBB0_8:
	v_dual_mov_b32 v8, v6 :: v_dual_mov_b32 v7, v5
.LBB0_9:
	s_lshl_b64 s[2:3], s[6:7], 3
	v_mul_hi_u32 v3, 0x226b903, v0
	s_wait_alu 0xfffe
	s_add_nc_u64 s[2:3], s[12:13], s[2:3]
	s_load_b64 s[2:3], s[2:3], 0x0
	s_load_b64 s[0:1], s[0:1], 0x20
	s_delay_alu instid0(VALU_DEP_1) | instskip(NEXT) | instid1(VALU_DEP_1)
	v_mul_u32_u24_e32 v3, 0x77, v3
	v_sub_nc_u32_e32 v112, v0, v3
	s_delay_alu instid0(VALU_DEP_1)
	v_add_nc_u32_e32 v114, 0x77, v112
	v_add_nc_u32_e32 v113, 0xee, v112
	s_wait_kmcnt 0x0
	v_mul_lo_u32 v4, s2, v8
	v_mul_lo_u32 v5, s3, v7
	v_mad_co_u64_u32 v[1:2], null, s2, v7, v[1:2]
	v_cmp_gt_u64_e32 vcc_lo, s[0:1], v[7:8]
	v_cmp_le_u64_e64 s0, s[0:1], v[7:8]
                                        ; implicit-def: $sgpr2
	s_delay_alu instid0(VALU_DEP_3) | instskip(NEXT) | instid1(VALU_DEP_2)
	v_add3_u32 v2, v5, v2, v4
	s_and_saveexec_b32 s1, s0
	s_wait_alu 0xfffe
	s_xor_b32 s0, exec_lo, s1
; %bb.10:
	v_add_nc_u32_e32 v114, 0x77, v112
	v_add_nc_u32_e32 v113, 0xee, v112
	s_mov_b32 s2, 0
; %bb.11:
	s_wait_alu 0xfffe
	s_or_saveexec_b32 s1, s0
	v_lshlrev_b64_e32 v[231:232], 4, v[1:2]
	v_mov_b32_e32 v202, s2
                                        ; implicit-def: $vgpr6_vgpr7
                                        ; implicit-def: $vgpr10_vgpr11
                                        ; implicit-def: $vgpr14_vgpr15
                                        ; implicit-def: $vgpr18_vgpr19
                                        ; implicit-def: $vgpr22_vgpr23
                                        ; implicit-def: $vgpr30_vgpr31
                                        ; implicit-def: $vgpr38_vgpr39
                                        ; implicit-def: $vgpr26_vgpr27
                                        ; implicit-def: $vgpr34_vgpr35
                                        ; implicit-def: $vgpr42_vgpr43
                                        ; implicit-def: $vgpr54_vgpr55
                                        ; implicit-def: $vgpr50_vgpr51
                                        ; implicit-def: $vgpr58_vgpr59
                                        ; implicit-def: $vgpr62_vgpr63
                                        ; implicit-def: $vgpr66_vgpr67
                                        ; implicit-def: $vgpr46_vgpr47
                                        ; implicit-def: $vgpr2_vgpr3
	s_wait_alu 0xfffe
	s_xor_b32 exec_lo, exec_lo, s1
	s_cbranch_execz .LBB0_13
; %bb.12:
	v_mad_co_u64_u32 v[0:1], null, s8, v112, 0
	v_mad_co_u64_u32 v[2:3], null, s8, v114, 0
	v_add_co_u32 v21, s0, s10, v231
	s_wait_alu 0xf1ff
	v_add_co_ci_u32_e64 v22, s0, s11, v232, s0
	v_add_nc_u32_e32 v16, 0x253, v112
	v_add_nc_u32_e32 v18, 0x2ca, v112
	v_mad_co_u64_u32 v[4:5], null, s9, v112, v[1:2]
	v_mad_co_u64_u32 v[5:6], null, s8, v113, 0
	v_add_nc_u32_e32 v15, 0x1dc, v112
	v_add_nc_u32_e32 v20, 0x341, v112
	;; [unrolled: 1-line block ×4, first 2 shown]
	v_mad_co_u64_u32 v[7:8], null, s9, v114, v[3:4]
	v_dual_mov_b32 v1, v4 :: v_dual_mov_b32 v4, v6
	v_mad_co_u64_u32 v[12:13], null, s8, v15, 0
	v_mov_b32_e32 v202, v112
	s_delay_alu instid0(VALU_DEP_3) | instskip(SKIP_3) | instid1(VALU_DEP_3)
	v_lshlrev_b64_e32 v[0:1], 4, v[0:1]
	v_mov_b32_e32 v3, v7
	v_mad_co_u64_u32 v[7:8], null, s8, v14, 0
	v_mad_co_u64_u32 v[9:10], null, s9, v113, v[4:5]
	v_lshlrev_b64_e32 v[2:3], 4, v[2:3]
	v_add_co_u32 v0, s0, v21, v0
	s_wait_alu 0xf1ff
	v_add_co_ci_u32_e64 v1, s0, v22, v1, s0
	v_add_nc_u32_e32 v23, 0x51d, v112
	s_delay_alu instid0(VALU_DEP_4) | instskip(SKIP_4) | instid1(VALU_DEP_3)
	v_add_co_u32 v10, s0, v21, v2
	v_mov_b32_e32 v2, v8
	s_wait_alu 0xf1ff
	v_add_co_ci_u32_e64 v11, s0, v22, v3, s0
	v_mov_b32_e32 v6, v9
	v_mad_co_u64_u32 v[8:9], null, s9, v14, v[2:3]
	s_clause 0x1
	global_load_b128 v[0:3], v[0:1], off
	global_load_b128 v[44:47], v[10:11], off
	v_mad_co_u64_u32 v[9:10], null, s8, v16, 0
	v_lshlrev_b64_e32 v[4:5], 4, v[5:6]
	v_mov_b32_e32 v6, v13
	s_delay_alu instid0(VALU_DEP_1) | instskip(SKIP_4) | instid1(VALU_DEP_3)
	v_mad_co_u64_u32 v[13:14], null, s9, v15, v[6:7]
	v_lshlrev_b64_e32 v[7:8], 4, v[7:8]
	v_mov_b32_e32 v6, v10
	v_mad_co_u64_u32 v[14:15], null, s8, v18, 0
	v_add_co_u32 v4, s0, v21, v4
	v_mad_co_u64_u32 v[10:11], null, s9, v16, v[6:7]
	s_wait_alu 0xf1ff
	v_add_co_ci_u32_e64 v5, s0, v22, v5, s0
	v_add_co_u32 v6, s0, v21, v7
	v_lshlrev_b64_e32 v[11:12], 4, v[12:13]
	s_wait_alu 0xf1ff
	v_add_co_ci_u32_e64 v7, s0, v22, v8, s0
	v_lshlrev_b64_e32 v[9:10], 4, v[9:10]
	v_mov_b32_e32 v8, v15
	v_mad_co_u64_u32 v[16:17], null, s8, v20, 0
	v_add_co_u32 v11, s0, v21, v11
	s_delay_alu instid0(VALU_DEP_3) | instskip(SKIP_2) | instid1(VALU_DEP_4)
	v_mad_co_u64_u32 v[18:19], null, s9, v18, v[8:9]
	s_wait_alu 0xf1ff
	v_add_co_ci_u32_e64 v12, s0, v22, v12, s0
	v_mov_b32_e32 v8, v17
	v_add_co_u32 v9, s0, v21, v9
	v_add_nc_u32_e32 v13, 0x3b8, v112
	v_mov_b32_e32 v15, v18
	s_wait_alu 0xf1ff
	v_add_co_ci_u32_e64 v10, s0, v22, v10, s0
	v_mad_co_u64_u32 v[17:18], null, s9, v20, v[8:9]
	v_mad_co_u64_u32 v[18:19], null, s8, v13, 0
	v_add_nc_u32_e32 v20, 0x42f, v112
	s_clause 0x3
	global_load_b128 v[64:67], v[4:5], off
	global_load_b128 v[60:63], v[6:7], off
	;; [unrolled: 1-line block ×4, first 2 shown]
	v_lshlrev_b64_e32 v[4:5], 4, v[14:15]
	v_mad_co_u64_u32 v[14:15], null, s8, v23, 0
	v_mad_co_u64_u32 v[7:8], null, s8, v20, 0
	v_mov_b32_e32 v6, v19
	v_lshlrev_b64_e32 v[9:10], 4, v[16:17]
	v_add_nc_u32_e32 v16, 0x4a6, v112
	v_add_co_u32 v4, s0, v21, v4
	s_wait_alu 0xf1ff
	v_add_co_ci_u32_e64 v5, s0, v22, v5, s0
	v_mad_co_u64_u32 v[11:12], null, s9, v13, v[6:7]
	v_mov_b32_e32 v6, v8
	v_add_co_u32 v8, s0, v21, v9
	v_mad_co_u64_u32 v[12:13], null, s8, v16, 0
	s_wait_alu 0xf1ff
	v_add_co_ci_u32_e64 v9, s0, v22, v10, s0
	v_mov_b32_e32 v19, v11
	v_mad_co_u64_u32 v[10:11], null, s9, v20, v[6:7]
	s_clause 0x1
	global_load_b128 v[52:55], v[4:5], off
	global_load_b128 v[40:43], v[8:9], off
	v_mov_b32_e32 v6, v13
	v_lshlrev_b64_e32 v[4:5], 4, v[18:19]
	v_add_nc_u32_e32 v18, 0x60b, v112
	v_add_nc_u32_e32 v20, 0x682, v112
	v_mov_b32_e32 v8, v10
	v_mad_co_u64_u32 v[16:17], null, s9, v16, v[6:7]
	v_mov_b32_e32 v6, v15
	v_add_co_u32 v4, s0, v21, v4
	s_delay_alu instid0(VALU_DEP_4) | instskip(SKIP_3) | instid1(VALU_DEP_3)
	v_lshlrev_b64_e32 v[7:8], 4, v[7:8]
	s_wait_alu 0xf1ff
	v_add_co_ci_u32_e64 v5, s0, v22, v5, s0
	v_dual_mov_b32 v13, v16 :: v_dual_add_nc_u32 v16, 0x594, v112
	v_mad_co_u64_u32 v[9:10], null, s9, v23, v[6:7]
	s_delay_alu instid0(VALU_DEP_2) | instskip(NEXT) | instid1(VALU_DEP_3)
	v_lshlrev_b64_e32 v[10:11], 4, v[12:13]
	v_mad_co_u64_u32 v[12:13], null, s8, v16, 0
	v_add_co_u32 v6, s0, v21, v7
	s_wait_alu 0xf1ff
	v_add_co_ci_u32_e64 v7, s0, v22, v8, s0
	v_mov_b32_e32 v15, v9
	s_clause 0x1
	global_load_b128 v[32:35], v[4:5], off
	global_load_b128 v[24:27], v[6:7], off
	v_mov_b32_e32 v6, v13
	v_add_co_u32 v4, s0, v21, v10
	v_lshlrev_b64_e32 v[7:8], 4, v[14:15]
	s_wait_alu 0xf1ff
	v_add_co_ci_u32_e64 v5, s0, v22, v11, s0
	v_mad_co_u64_u32 v[14:15], null, s8, v20, 0
	v_add_nc_u32_e32 v23, 0x6f9, v112
	s_delay_alu instid0(VALU_DEP_4) | instskip(SKIP_4) | instid1(VALU_DEP_4)
	v_mad_co_u64_u32 v[9:10], null, s9, v16, v[6:7]
	v_mad_co_u64_u32 v[10:11], null, s8, v18, 0
	v_add_co_u32 v6, s0, v21, v7
	s_wait_alu 0xf1ff
	v_add_co_ci_u32_e64 v7, s0, v22, v8, s0
	v_mov_b32_e32 v13, v9
	s_delay_alu instid0(VALU_DEP_4)
	v_dual_mov_b32 v9, v15 :: v_dual_mov_b32 v8, v11
	v_mad_co_u64_u32 v[16:17], null, s8, v23, 0
	s_clause 0x1
	global_load_b128 v[36:39], v[4:5], off
	global_load_b128 v[28:31], v[6:7], off
	v_lshlrev_b64_e32 v[5:6], 4, v[12:13]
	v_mad_co_u64_u32 v[18:19], null, s9, v18, v[8:9]
	v_mad_co_u64_u32 v[8:9], null, s9, v20, v[9:10]
	;; [unrolled: 1-line block ×3, first 2 shown]
	s_delay_alu instid0(VALU_DEP_3) | instskip(NEXT) | instid1(VALU_DEP_3)
	v_dual_mov_b32 v4, v17 :: v_dual_mov_b32 v11, v18
	v_mov_b32_e32 v15, v8
	s_delay_alu instid0(VALU_DEP_2) | instskip(NEXT) | instid1(VALU_DEP_4)
	v_mad_co_u64_u32 v[7:8], null, s9, v23, v[4:5]
	v_mov_b32_e32 v4, v20
	v_add_co_u32 v5, s0, v21, v5
	v_lshlrev_b64_e32 v[8:9], 4, v[10:11]
	s_wait_alu 0xf1ff
	v_add_co_ci_u32_e64 v6, s0, v22, v6, s0
	v_mov_b32_e32 v17, v7
	v_mad_co_u64_u32 v[10:11], null, s9, v68, v[4:5]
	v_lshlrev_b64_e32 v[11:12], 4, v[14:15]
	v_add_co_u32 v7, s0, v21, v8
	s_wait_alu 0xf1ff
	v_add_co_ci_u32_e64 v8, s0, v22, v9, s0
	v_lshlrev_b64_e32 v[13:14], 4, v[16:17]
	v_mov_b32_e32 v20, v10
	v_add_co_u32 v9, s0, v21, v11
	s_wait_alu 0xf1ff
	v_add_co_ci_u32_e64 v10, s0, v22, v12, s0
	s_delay_alu instid0(VALU_DEP_3) | instskip(SKIP_3) | instid1(VALU_DEP_3)
	v_lshlrev_b64_e32 v[11:12], 4, v[19:20]
	v_add_co_u32 v68, s0, v21, v13
	s_wait_alu 0xf1ff
	v_add_co_ci_u32_e64 v69, s0, v22, v14, s0
	v_add_co_u32 v70, s0, v21, v11
	s_wait_alu 0xf1ff
	v_add_co_ci_u32_e64 v71, s0, v22, v12, s0
	s_clause 0x4
	global_load_b128 v[20:23], v[5:6], off
	global_load_b128 v[16:19], v[7:8], off
	;; [unrolled: 1-line block ×5, first 2 shown]
.LBB0_13:
	s_or_b32 exec_lo, exec_lo, s1
	s_wait_loadcnt 0xf
	v_add_f64_e32 v[68:69], v[44:45], v[0:1]
	s_wait_loadcnt 0x0
	v_add_f64_e64 v[70:71], v[46:47], -v[6:7]
	s_mov_b32 s42, 0xeb564b22
	s_mov_b32 s24, 0x923c349f
	s_mov_b32 s43, 0xbfefdd0d
	s_mov_b32 s25, 0xbfeec746
	s_mov_b32 s36, 0x4363dd80
	s_mov_b32 s30, 0x6c9a05f6
	s_mov_b32 s38, 0xacd6c6b4
	s_mov_b32 s37, 0xbfe0d888
	s_mov_b32 s31, 0xbfe9895b
	v_add_f64_e32 v[72:73], v[4:5], v[44:45]
	v_add_f64_e64 v[74:75], v[66:67], -v[10:11]
	s_mov_b32 s39, 0xbfc7851a
	s_mov_b32 s52, 0x7c9e640b
	s_mov_b32 s48, 0x2a9d6da3
	s_mov_b32 s44, 0x5d8e7cdc
	s_mov_b32 s53, 0xbfeca52d
	s_mov_b32 s49, 0xbfe58eea
	s_mov_b32 s45, 0xbfd71e95
	s_mov_b32 s2, 0x3259b75e
	s_mov_b32 s6, 0xc61f0d01
	s_mov_b32 s3, 0x3fb79ee6
	s_mov_b32 s7, 0xbfd183b1
	s_mov_b32 s55, 0x3fe0d888
	s_mov_b32 s16, 0x910ea3b9
	s_mov_b32 s12, 0x6ed5f1bb
	s_mov_b32 s51, 0x3feec746
	s_mov_b32 s29, 0x3feca52d
	s_mov_b32 s41, 0x3fd71e95
	s_mov_b32 s54, s36
	s_wait_alu 0xfffe
	s_mov_b32 s50, s24
	s_mov_b32 s28, s52
	;; [unrolled: 1-line block ×6, first 2 shown]
	v_add_f64_e32 v[76:77], v[8:9], v[64:65]
	v_add_f64_e32 v[68:69], v[64:65], v[68:69]
	v_mul_f64_e32 v[104:105], s[42:43], v[70:71]
	v_mul_f64_e32 v[106:107], s[24:25], v[70:71]
	;; [unrolled: 1-line block ×8, first 2 shown]
	s_mov_b32 s19, 0xbfef7484
	v_add_f64_e64 v[78:79], v[62:63], -v[14:15]
	s_mov_b32 s14, 0x2b2883cd
	v_mul_f64_e32 v[121:122], s[38:39], v[74:75]
	v_mul_f64_e32 v[123:124], s[54:55], v[74:75]
	;; [unrolled: 1-line block ×3, first 2 shown]
	s_wait_alu 0xfffe
	v_mul_f64_e32 v[127:128], s[28:29], v[74:75]
	v_mul_f64_e32 v[153:154], s[40:41], v[74:75]
	;; [unrolled: 1-line block ×5, first 2 shown]
	s_mov_b32 s20, 0x75d4884
	s_mov_b32 s22, 0x370991
	s_mov_b32 s15, 0x3fdc86fa
	s_mov_b32 s21, 0x3fe7a5f6
	s_mov_b32 s23, 0x3fedd6d0
	s_mov_b32 s35, 0x3fe58eea
	s_mov_b32 s57, 0x3fc7851a
	s_mov_b32 s34, s48
	s_mov_b32 s56, s38
	v_add_f64_e32 v[80:81], v[12:13], v[60:61]
	v_add_f64_e64 v[82:83], v[58:59], -v[18:19]
	s_mov_b32 s47, 0x3fe9895b
	s_mov_b32 s46, s30
	v_add_f64_e32 v[84:85], v[16:17], v[56:57]
	v_add_f64_e64 v[86:87], v[50:51], -v[22:23]
	s_mov_b32 s27, 0x3fefdd0d
	s_mov_b32 s26, s42
	v_add_f64_e32 v[88:89], v[20:21], v[48:49]
	v_add_f64_e32 v[68:69], v[60:61], v[68:69]
	v_fma_f64 v[171:172], v[72:73], s[2:3], v[104:105]
	v_fma_f64 v[173:174], v[72:73], s[6:7], v[106:107]
	;; [unrolled: 1-line block ×4, first 2 shown]
	v_fma_f64 v[108:109], v[72:73], s[12:13], -v[108:109]
	v_fma_f64 v[179:180], v[72:73], s[18:19], v[115:116]
	v_fma_f64 v[115:116], v[72:73], s[18:19], -v[115:116]
	v_fma_f64 v[110:111], v[72:73], s[16:17], -v[110:111]
	;; [unrolled: 1-line block ×4, first 2 shown]
	s_wait_alu 0xfffe
	v_fma_f64 v[181:182], v[72:73], s[22:23], v[117:118]
	v_fma_f64 v[183:184], v[72:73], s[20:21], v[119:120]
	v_fma_f64 v[119:120], v[72:73], s[20:21], -v[119:120]
	v_fma_f64 v[185:186], v[72:73], s[14:15], -v[70:71]
	;; [unrolled: 1-line block ×3, first 2 shown]
	v_fma_f64 v[70:71], v[72:73], s[14:15], v[70:71]
	v_mul_f64_e32 v[129:130], s[50:51], v[78:79]
	v_mul_f64_e32 v[131:132], s[34:35], v[78:79]
	;; [unrolled: 1-line block ×8, first 2 shown]
	v_fma_f64 v[193:194], v[76:77], s[18:19], v[121:122]
	v_fma_f64 v[195:196], v[76:77], s[16:17], v[123:124]
	;; [unrolled: 1-line block ×4, first 2 shown]
	v_fma_f64 v[125:126], v[76:77], s[6:7], -v[125:126]
	v_fma_f64 v[127:128], v[76:77], s[14:15], -v[127:128]
	v_fma_f64 v[203:204], v[76:77], s[22:23], v[153:154]
	v_fma_f64 v[153:154], v[76:77], s[22:23], -v[153:154]
	v_fma_f64 v[205:206], v[76:77], s[20:21], v[157:158]
	;; [unrolled: 2-line block ×4, first 2 shown]
	v_add_f64_e32 v[68:69], v[56:57], v[68:69]
	v_fma_f64 v[74:75], v[76:77], s[12:13], -v[74:75]
	v_fma_f64 v[121:122], v[76:77], s[18:19], -v[121:122]
	;; [unrolled: 1-line block ×3, first 2 shown]
	v_add_f64_e32 v[123:124], v[0:1], v[171:172]
	v_add_f64_e32 v[171:172], v[0:1], v[173:174]
	;; [unrolled: 1-line block ×16, first 2 shown]
	v_mul_f64_e32 v[137:138], s[40:41], v[82:83]
	v_mul_f64_e32 v[139:140], s[52:53], v[82:83]
	v_mul_f64_e32 v[141:142], s[36:37], v[82:83]
	v_mul_f64_e32 v[143:144], s[46:47], v[82:83]
	v_mul_f64_e32 v[185:186], s[34:35], v[82:83]
	v_mul_f64_e32 v[211:212], s[38:39], v[82:83]
	v_mul_f64_e32 v[213:214], s[50:51], v[82:83]
	v_mul_f64_e32 v[82:83], s[42:43], v[82:83]
	v_fma_f64 v[215:216], v[80:81], s[6:7], v[129:130]
	v_fma_f64 v[217:218], v[80:81], s[20:21], v[131:132]
	;; [unrolled: 1-line block ×4, first 2 shown]
	v_fma_f64 v[133:134], v[80:81], s[22:23], -v[133:134]
	v_fma_f64 v[135:136], v[80:81], s[2:3], -v[135:136]
	v_fma_f64 v[223:224], v[80:81], s[16:17], v[187:188]
	v_fma_f64 v[187:188], v[80:81], s[16:17], -v[187:188]
	v_fma_f64 v[225:226], v[80:81], s[14:15], v[189:190]
	v_fma_f64 v[189:190], v[80:81], s[14:15], -v[189:190]
	v_add_f64_e32 v[68:69], v[48:49], v[68:69]
	v_fma_f64 v[227:228], v[80:81], s[12:13], v[191:192]
	v_fma_f64 v[191:192], v[80:81], s[12:13], -v[191:192]
	v_fma_f64 v[229:230], v[80:81], s[18:19], v[78:79]
	v_fma_f64 v[78:79], v[80:81], s[18:19], -v[78:79]
	v_fma_f64 v[129:130], v[80:81], s[6:7], -v[129:130]
	;; [unrolled: 1-line block ×3, first 2 shown]
	v_add_f64_e32 v[123:124], v[193:194], v[123:124]
	v_add_f64_e32 v[131:132], v[195:196], v[171:172]
	;; [unrolled: 1-line block ×16, first 2 shown]
	v_add_f64_e64 v[90:91], v[54:55], -v[30:31]
	v_mul_f64_e32 v[145:146], s[52:53], v[86:87]
	v_mul_f64_e32 v[147:148], s[38:39], v[86:87]
	;; [unrolled: 1-line block ×8, first 2 shown]
	v_fma_f64 v[175:176], v[84:85], s[22:23], v[137:138]
	v_fma_f64 v[177:178], v[84:85], s[14:15], v[139:140]
	;; [unrolled: 1-line block ×4, first 2 shown]
	v_fma_f64 v[141:142], v[84:85], s[16:17], -v[141:142]
	v_fma_f64 v[143:144], v[84:85], s[12:13], -v[143:144]
	v_add_f64_e32 v[68:69], v[52:53], v[68:69]
	v_fma_f64 v[183:184], v[84:85], s[20:21], v[185:186]
	v_fma_f64 v[185:186], v[84:85], s[20:21], -v[185:186]
	v_fma_f64 v[193:194], v[84:85], s[18:19], v[211:212]
	v_fma_f64 v[195:196], v[84:85], s[18:19], -v[211:212]
	;; [unrolled: 2-line block ×3, first 2 shown]
	v_fma_f64 v[137:138], v[84:85], s[22:23], -v[137:138]
	v_fma_f64 v[139:140], v[84:85], s[14:15], -v[139:140]
	v_fma_f64 v[203:204], v[84:85], s[2:3], v[82:83]
	v_fma_f64 v[82:83], v[84:85], s[2:3], -v[82:83]
	v_add_f64_e32 v[84:85], v[215:216], v[123:124]
	v_add_f64_e32 v[123:124], v[217:218], v[131:132]
	;; [unrolled: 1-line block ×17, first 2 shown]
	v_add_f64_e64 v[96:97], v[42:43], -v[38:39]
	v_mul_f64_e32 v[155:156], s[36:37], v[90:91]
	v_mul_f64_e32 v[159:160], s[26:27], v[90:91]
	v_fma_f64 v[153:154], v[88:89], s[14:15], v[145:146]
	v_fma_f64 v[173:174], v[88:89], s[18:19], v[147:148]
	;; [unrolled: 1-line block ×4, first 2 shown]
	v_fma_f64 v[149:150], v[88:89], s[2:3], -v[149:150]
	v_fma_f64 v[151:152], v[88:89], s[22:23], -v[151:152]
	v_fma_f64 v[191:192], v[88:89], s[12:13], v[121:122]
	v_add_f64_e32 v[68:69], v[40:41], v[68:69]
	v_fma_f64 v[121:122], v[88:89], s[12:13], -v[121:122]
	v_fma_f64 v[205:206], v[88:89], s[16:17], v[157:158]
	v_fma_f64 v[157:158], v[88:89], s[16:17], -v[157:158]
	v_fma_f64 v[207:208], v[88:89], s[20:21], v[161:162]
	v_fma_f64 v[161:162], v[88:89], s[20:21], -v[161:162]
	v_fma_f64 v[145:146], v[88:89], s[14:15], -v[145:146]
	;; [unrolled: 1-line block ×3, first 2 shown]
	v_fma_f64 v[209:210], v[88:89], s[6:7], v[86:87]
	v_fma_f64 v[86:87], v[88:89], s[6:7], -v[86:87]
	v_mul_f64_e32 v[163:164], s[48:49], v[90:91]
	v_add_f64_e32 v[84:85], v[175:176], v[84:85]
	v_add_f64_e32 v[88:89], v[177:178], v[123:124]
	v_mul_f64_e32 v[165:166], s[38:39], v[90:91]
	v_mul_f64_e32 v[106:107], s[28:29], v[90:91]
	;; [unrolled: 1-line block ×5, first 2 shown]
	v_add_f64_e32 v[123:124], v[179:180], v[131:132]
	v_add_f64_e32 v[131:132], v[181:182], v[171:172]
	;; [unrolled: 1-line block ×15, first 2 shown]
	v_add_f64_e64 v[100:101], v[34:35], -v[26:27]
	v_mul_f64_e32 v[167:168], s[46:47], v[96:97]
	v_mul_f64_e32 v[169:170], s[44:45], v[96:97]
	v_fma_f64 v[143:144], v[94:95], s[16:17], v[155:156]
	v_fma_f64 v[171:172], v[94:95], s[2:3], v[159:160]
	v_add_f64_e32 v[68:69], v[32:33], v[68:69]
	v_mul_f64_e32 v[72:73], s[38:39], v[96:97]
	v_mul_f64_e32 v[70:71], s[34:35], v[96:97]
	;; [unrolled: 1-line block ×6, first 2 shown]
	v_fma_f64 v[155:156], v[94:95], s[16:17], -v[155:156]
	v_fma_f64 v[159:160], v[94:95], s[2:3], -v[159:160]
	v_add_f64_e32 v[102:103], v[24:25], v[32:33]
	v_fma_f64 v[175:176], v[94:95], s[20:21], v[163:164]
	v_add_f64_e32 v[84:85], v[153:154], v[84:85]
	v_add_f64_e32 v[88:89], v[173:174], v[88:89]
	v_fma_f64 v[177:178], v[94:95], s[18:19], v[165:166]
	v_fma_f64 v[163:164], v[94:95], s[20:21], -v[163:164]
	v_fma_f64 v[165:166], v[94:95], s[18:19], -v[165:166]
	v_fma_f64 v[179:180], v[94:95], s[14:15], v[106:107]
	v_fma_f64 v[106:107], v[94:95], s[14:15], -v[106:107]
	v_fma_f64 v[181:182], v[94:95], s[6:7], v[129:130]
	;; [unrolled: 2-line block ×4, first 2 shown]
	v_fma_f64 v[90:91], v[94:95], s[12:13], -v[90:91]
	v_add_f64_e32 v[94:95], v[187:188], v[123:124]
	v_add_f64_e32 v[123:124], v[189:190], v[131:132]
	;; [unrolled: 1-line block ×15, first 2 shown]
	v_mul_f64_e32 v[117:118], s[34:35], v[100:101]
	v_mul_f64_e32 v[80:81], s[30:31], v[100:101]
	v_fma_f64 v[147:148], v[98:99], s[12:13], v[167:168]
	v_fma_f64 v[149:150], v[98:99], s[22:23], v[169:170]
	v_mul_f64_e32 v[82:83], s[28:29], v[100:101]
	v_mul_f64_e32 v[86:87], s[24:25], v[100:101]
	v_fma_f64 v[151:152], v[98:99], s[18:19], v[72:73]
	v_fma_f64 v[153:154], v[98:99], s[20:21], v[70:71]
	v_fma_f64 v[72:73], v[98:99], s[18:19], -v[72:73]
	v_fma_f64 v[70:71], v[98:99], s[20:21], -v[70:71]
	v_add_f64_e32 v[84:85], v[143:144], v[84:85]
	v_add_f64_e32 v[88:89], v[171:172], v[88:89]
	v_fma_f64 v[157:158], v[98:99], s[6:7], v[137:138]
	v_fma_f64 v[137:138], v[98:99], s[6:7], -v[137:138]
	v_fma_f64 v[161:162], v[98:99], s[14:15], v[139:140]
	v_fma_f64 v[139:140], v[98:99], s[14:15], -v[139:140]
	;; [unrolled: 2-line block ×3, first 2 shown]
	v_fma_f64 v[167:168], v[98:99], s[12:13], -v[167:168]
	v_fma_f64 v[169:170], v[98:99], s[22:23], -v[169:170]
	v_fma_f64 v[187:188], v[98:99], s[16:17], v[96:97]
	v_fma_f64 v[96:97], v[98:99], s[16:17], -v[96:97]
	v_mul_f64_e32 v[131:132], s[26:27], v[100:101]
	v_add_f64_e32 v[94:95], v[175:176], v[94:95]
	v_add_f64_e32 v[98:99], v[177:178], v[123:124]
	v_mul_f64_e32 v[133:134], s[40:41], v[100:101]
	v_mul_f64_e32 v[145:146], s[36:37], v[100:101]
	;; [unrolled: 1-line block ×3, first 2 shown]
	v_add_f64_e32 v[108:109], v[163:164], v[108:109]
	v_add_f64_e32 v[123:124], v[179:180], v[125:126]
	v_add_f64_e32 v[106:107], v[106:107], v[115:116]
	v_add_f64_e32 v[110:111], v[165:166], v[110:111]
	v_add_f64_e32 v[104:105], v[155:156], v[104:105]
	v_add_f64_e32 v[76:77], v[159:160], v[76:77]
	v_add_f64_e32 v[115:116], v[185:186], v[121:122]
	v_add_f64_e32 v[119:120], v[129:130], v[119:120]
	v_add_f64_e32 v[74:75], v[135:136], v[74:75]
	v_add_f64_e32 v[68:69], v[36:37], v[68:69]
	v_add_f64_e32 v[78:79], v[90:91], v[78:79]
	v_add_f64_e32 v[121:122], v[181:182], v[127:128]
	v_add_f64_e32 v[0:1], v[183:184], v[0:1]
	v_fma_f64 v[90:91], v[102:103], s[20:21], v[117:118]
	v_fma_f64 v[125:126], v[102:103], s[12:13], v[80:81]
	;; [unrolled: 1-line block ×4, first 2 shown]
	v_fma_f64 v[82:83], v[102:103], s[14:15], -v[82:83]
	v_fma_f64 v[86:87], v[102:103], s[6:7], -v[86:87]
	;; [unrolled: 1-line block ×3, first 2 shown]
	v_add_f64_e32 v[84:85], v[147:148], v[84:85]
	v_add_f64_e32 v[88:89], v[149:150], v[88:89]
	v_fma_f64 v[80:81], v[102:103], s[12:13], -v[80:81]
	v_cmp_gt_u32_e64 s0, 51, v112
	v_fma_f64 v[135:136], v[102:103], s[2:3], v[131:132]
	v_add_f64_e32 v[94:95], v[151:152], v[94:95]
	v_add_f64_e32 v[98:99], v[153:154], v[98:99]
	v_fma_f64 v[131:132], v[102:103], s[2:3], -v[131:132]
	v_fma_f64 v[143:144], v[102:103], s[22:23], v[133:134]
	v_fma_f64 v[133:134], v[102:103], s[22:23], -v[133:134]
	v_fma_f64 v[155:156], v[102:103], s[16:17], v[145:146]
	;; [unrolled: 2-line block ×3, first 2 shown]
	v_fma_f64 v[100:101], v[102:103], s[18:19], -v[100:101]
	v_add_f64_e32 v[72:73], v[72:73], v[108:109]
	v_add_f64_e32 v[102:103], v[157:158], v[123:124]
	;; [unrolled: 1-line block ×30, first 2 shown]
	v_mad_u32_u24 v0, 0x88, v112, 0
	v_lshlrev_b32_e32 v1, 7, v112
	v_lshl_add_u32 v116, v114, 3, 0
	v_lshl_add_u32 v117, v113, 3, 0
                                        ; implicit-def: $vgpr100_vgpr101
	s_delay_alu instid0(VALU_DEP_3) | instskip(NEXT) | instid1(VALU_DEP_1)
	v_sub_nc_u32_e32 v115, v0, v1
	v_add_nc_u32_e32 v1, 0x800, v115
	v_add_nc_u32_e32 v118, 0x1000, v115
	;; [unrolled: 1-line block ×6, first 2 shown]
	v_add_f64_e32 v[68:69], v[16:17], v[68:69]
	s_delay_alu instid0(VALU_DEP_1) | instskip(NEXT) | instid1(VALU_DEP_1)
	v_add_f64_e32 v[68:69], v[12:13], v[68:69]
	v_add_f64_e32 v[68:69], v[8:9], v[68:69]
	s_delay_alu instid0(VALU_DEP_1)
	v_add_f64_e32 v[68:69], v[4:5], v[68:69]
	ds_store_2addr_b64 v0, v[84:85], v[88:89] offset0:4 offset1:5
	ds_store_2addr_b64 v0, v[90:91], v[123:124] offset0:6 offset1:7
	;; [unrolled: 1-line block ×6, first 2 shown]
	ds_store_b64 v0, v[98:99] offset:128
	ds_store_2addr_b64 v0, v[68:69], v[86:87] offset1:1
	ds_store_2addr_b64 v0, v[106:107], v[74:75] offset0:2 offset1:3
	global_wb scope:SCOPE_SE
	s_wait_dscnt 0x0
	s_barrier_signal -1
	s_barrier_wait -1
	global_inv scope:SCOPE_SE
	ds_load_b64 v[110:111], v115
	ds_load_b64 v[108:109], v116
	ds_load_2addr_b64 v[76:79], v1 offset0:33 offset1:152
	ds_load_2addr_b64 v[80:83], v118 offset0:66 offset1:185
	;; [unrolled: 1-line block ×6, first 2 shown]
                                        ; implicit-def: $vgpr102_vgpr103
                                        ; implicit-def: $vgpr104_vgpr105
                                        ; implicit-def: $vgpr106_vgpr107
	s_and_saveexec_b32 s1, s0
	s_cbranch_execz .LBB0_15
; %bb.14:
	ds_load_b64 v[96:97], v115 offset:4216
	ds_load_b64 v[98:99], v115 offset:6528
	;; [unrolled: 1-line block ×5, first 2 shown]
	ds_load_b64 v[94:95], v117
	ds_load_b64 v[100:101], v115 offset:15776
.LBB0_15:
	s_wait_alu 0xfffe
	s_or_b32 exec_lo, exec_lo, s1
	v_add_f64_e32 v[123:124], v[46:47], v[2:3]
	v_add_f64_e64 v[4:5], v[44:45], -v[4:5]
	v_add_f64_e64 v[8:9], v[64:65], -v[8:9]
	;; [unrolled: 1-line block ×4, first 2 shown]
	v_add_f64_e32 v[46:47], v[6:7], v[46:47]
	v_add_f64_e32 v[56:57], v[10:11], v[66:67]
	;; [unrolled: 1-line block ×3, first 2 shown]
	v_add_f64_e64 v[20:21], v[48:49], -v[20:21]
	v_add_f64_e32 v[48:49], v[30:31], v[54:55]
	v_add_f64_e64 v[36:37], v[40:41], -v[36:37]
	v_add_f64_e64 v[24:25], v[32:33], -v[24:25]
	;; [unrolled: 1-line block ×3, first 2 shown]
	v_add_f64_e32 v[52:53], v[38:39], v[42:43]
	v_add_f64_e32 v[64:65], v[26:27], v[34:35]
	global_wb scope:SCOPE_SE
	s_wait_dscnt 0x0
	s_barrier_signal -1
	s_barrier_wait -1
	global_inv scope:SCOPE_SE
	v_add_f64_e32 v[123:124], v[66:67], v[123:124]
	v_mul_f64_e32 v[40:41], s[48:49], v[4:5]
	v_mul_f64_e32 v[66:67], s[24:25], v[4:5]
	;; [unrolled: 1-line block ×32, first 2 shown]
	v_add_f64_e32 v[123:124], v[62:63], v[123:124]
	v_mul_f64_e32 v[62:63], s[42:43], v[4:5]
	v_fma_f64 v[173:174], v[46:47], s[20:21], v[40:41]
	v_fma_f64 v[177:178], v[46:47], s[6:7], -v[66:67]
	v_fma_f64 v[181:182], v[46:47], s[16:17], -v[32:33]
	;; [unrolled: 1-line block ×3, first 2 shown]
	v_fma_f64 v[125:126], v[46:47], s[18:19], v[125:126]
	v_fma_f64 v[32:33], v[46:47], s[16:17], v[32:33]
	;; [unrolled: 1-line block ×3, first 2 shown]
	v_fma_f64 v[40:41], v[46:47], s[20:21], -v[40:41]
	v_fma_f64 v[193:194], v[56:57], s[20:21], -v[127:128]
	v_fma_f64 v[127:128], v[56:57], s[20:21], v[127:128]
	v_fma_f64 v[195:196], v[56:57], s[2:3], -v[129:130]
	v_fma_f64 v[129:130], v[56:57], s[2:3], v[129:130]
	;; [unrolled: 2-line block ×14, first 2 shown]
	v_add_f64_e32 v[123:124], v[58:59], v[123:124]
	v_fma_f64 v[175:176], v[46:47], s[2:3], -v[62:63]
	v_fma_f64 v[62:63], v[46:47], s[2:3], v[62:63]
	v_add_f64_e32 v[58:59], v[18:19], v[58:59]
	v_add_f64_e32 v[125:126], v[2:3], v[125:126]
	;; [unrolled: 1-line block ×11, first 2 shown]
	v_fma_f64 v[195:196], v[58:59], s[20:21], -v[16:17]
	v_fma_f64 v[16:17], v[58:59], s[20:21], v[16:17]
	v_mul_f64_e32 v[135:136], s[38:39], v[28:29]
	v_mul_f64_e32 v[137:138], s[36:37], v[36:37]
	v_add_f64_e32 v[44:45], v[54:55], v[123:124]
	v_mul_f64_e32 v[54:55], s[44:45], v[4:5]
	v_mul_f64_e32 v[123:124], s[30:31], v[4:5]
	;; [unrolled: 1-line block ×3, first 2 shown]
	v_add_f64_e32 v[62:63], v[133:134], v[62:63]
	v_add_f64_e32 v[40:41], v[215:216], v[40:41]
	;; [unrolled: 1-line block ×3, first 2 shown]
	v_mul_f64_e32 v[44:45], s[50:51], v[8:9]
	v_mul_f64_e32 v[8:9], s[40:41], v[8:9]
	v_fma_f64 v[171:172], v[46:47], s[22:23], -v[54:55]
	v_fma_f64 v[54:55], v[46:47], s[22:23], v[54:55]
	v_fma_f64 v[179:180], v[46:47], s[12:13], -v[123:124]
	v_fma_f64 v[123:124], v[46:47], s[12:13], v[123:124]
	v_fma_f64 v[185:186], v[46:47], s[14:15], v[4:5]
	v_fma_f64 v[4:5], v[46:47], s[14:15], -v[4:5]
	v_mul_f64_e32 v[46:47], s[52:53], v[20:21]
	v_add_f64_e32 v[62:63], v[145:146], v[62:63]
	v_fma_f64 v[145:146], v[50:51], s[6:7], -v[167:168]
	v_add_f64_e32 v[34:35], v[34:35], v[42:43]
	v_fma_f64 v[205:206], v[56:57], s[6:7], -v[44:45]
	v_fma_f64 v[44:45], v[56:57], s[6:7], v[44:45]
	v_fma_f64 v[209:210], v[56:57], s[22:23], -v[8:9]
	v_fma_f64 v[8:9], v[56:57], s[22:23], v[8:9]
	v_add_f64_e32 v[56:57], v[2:3], v[171:172]
	v_add_f64_e32 v[54:55], v[2:3], v[54:55]
	;; [unrolled: 1-line block ×11, first 2 shown]
	v_mul_f64_e32 v[42:43], s[34:35], v[20:21]
	v_mul_f64_e32 v[20:21], s[30:31], v[20:21]
	;; [unrolled: 1-line block ×3, first 2 shown]
	v_add_f64_e32 v[4:5], v[26:27], v[34:35]
	v_mul_f64_e32 v[26:27], s[30:31], v[28:29]
	v_mul_f64_e32 v[34:35], s[50:51], v[28:29]
	v_add_f64_e32 v[8:9], v[8:9], v[125:126]
	v_add_f64_e32 v[56:57], v[193:194], v[56:57]
	;; [unrolled: 1-line block ×12, first 2 shown]
	v_fma_f64 v[173:174], v[58:59], s[2:3], -v[153:154]
	v_fma_f64 v[153:154], v[58:59], s[2:3], v[153:154]
	v_fma_f64 v[175:176], v[58:59], s[18:19], -v[155:156]
	v_fma_f64 v[155:156], v[58:59], s[18:19], v[155:156]
	;; [unrolled: 2-line block ×7, first 2 shown]
	v_mul_f64_e32 v[131:132], s[48:49], v[28:29]
	v_fma_f64 v[197:198], v[50:51], s[2:3], -v[189:190]
	v_fma_f64 v[189:190], v[50:51], s[2:3], v[189:190]
	v_fma_f64 v[199:200], v[50:51], s[22:23], -v[191:192]
	v_fma_f64 v[191:192], v[50:51], s[22:23], v[191:192]
	v_fma_f64 v[203:204], v[50:51], s[12:13], -v[20:21]
	v_fma_f64 v[20:21], v[50:51], s[12:13], v[20:21]
	v_add_f64_e32 v[4:5], v[38:39], v[4:5]
	v_mul_f64_e32 v[38:39], s[26:27], v[28:29]
	v_mul_f64_e32 v[28:29], s[28:29], v[28:29]
	v_add_f64_e32 v[8:9], v[12:13], v[8:9]
	v_add_f64_e32 v[56:57], v[213:214], v[56:57]
	;; [unrolled: 1-line block ×14, first 2 shown]
	v_fma_f64 v[147:148], v[50:51], s[6:7], v[167:168]
	v_fma_f64 v[149:150], v[50:51], s[16:17], -v[169:170]
	v_fma_f64 v[151:152], v[50:51], s[16:17], v[169:170]
	v_fma_f64 v[167:168], v[50:51], s[20:21], -v[42:43]
	;; [unrolled: 2-line block ×4, first 2 shown]
	v_fma_f64 v[187:188], v[50:51], s[18:19], v[187:188]
	v_add_f64_e32 v[40:41], v[175:176], v[40:41]
	v_mul_f64_e32 v[125:126], s[42:43], v[36:37]
	v_mul_f64_e32 v[139:140], s[46:47], v[36:37]
	;; [unrolled: 1-line block ×4, first 2 shown]
	v_fma_f64 v[175:176], v[48:49], s[20:21], -v[131:132]
	v_fma_f64 v[131:132], v[48:49], s[20:21], v[131:132]
	v_add_f64_e32 v[4:5], v[30:31], v[4:5]
	v_mul_f64_e32 v[30:31], s[28:29], v[36:37]
	v_add_f64_e32 v[8:9], v[16:17], v[8:9]
	v_add_f64_e32 v[50:51], v[173:174], v[56:57]
	;; [unrolled: 1-line block ×15, first 2 shown]
	v_fma_f64 v[155:156], v[48:49], s[12:13], -v[26:27]
	v_fma_f64 v[26:27], v[48:49], s[12:13], v[26:27]
	v_fma_f64 v[157:158], v[48:49], s[6:7], -v[34:35]
	v_fma_f64 v[34:35], v[48:49], s[6:7], v[34:35]
	;; [unrolled: 2-line block ×7, first 2 shown]
	v_mul_f64_e32 v[66:67], s[38:39], v[24:25]
	v_mul_f64_e32 v[133:134], s[40:41], v[24:25]
	;; [unrolled: 1-line block ×3, first 2 shown]
	v_add_f64_e32 v[4:5], v[22:23], v[4:5]
	v_mul_f64_e32 v[22:23], s[34:35], v[36:37]
	v_mul_f64_e32 v[36:37], s[24:25], v[36:37]
	v_add_f64_e32 v[8:9], v[20:21], v[8:9]
	v_add_f64_e32 v[48:49], v[145:146], v[50:51]
	;; [unrolled: 1-line block ×16, first 2 shown]
	v_mul_f64_e32 v[40:41], s[30:31], v[24:25]
	v_fma_f64 v[129:130], v[52:53], s[16:17], -v[137:138]
	v_fma_f64 v[137:138], v[52:53], s[16:17], v[137:138]
	v_fma_f64 v[145:146], v[52:53], s[14:15], -v[30:31]
	v_fma_f64 v[30:31], v[52:53], s[14:15], v[30:31]
	;; [unrolled: 2-line block ×6, first 2 shown]
	v_mul_f64_e32 v[42:43], s[28:29], v[24:25]
	v_mul_f64_e32 v[127:128], s[24:25], v[24:25]
	v_add_f64_e32 v[4:5], v[18:19], v[4:5]
	v_mul_f64_e32 v[18:19], s[34:35], v[24:25]
	v_fma_f64 v[169:170], v[52:53], s[20:21], -v[22:23]
	v_fma_f64 v[22:23], v[52:53], s[20:21], v[22:23]
	v_fma_f64 v[171:172], v[52:53], s[6:7], -v[36:37]
	v_fma_f64 v[36:37], v[52:53], s[6:7], v[36:37]
	v_add_f64_e32 v[48:49], v[155:156], v[48:49]
	v_add_f64_e32 v[26:27], v[26:27], v[50:51]
	;; [unrolled: 1-line block ×8, first 2 shown]
	v_mul_f64_e32 v[24:25], s[26:27], v[24:25]
	v_add_f64_e32 v[58:59], v[179:180], v[123:124]
	v_add_f64_e32 v[8:9], v[28:29], v[8:9]
	;; [unrolled: 1-line block ×8, first 2 shown]
	v_fma_f64 v[32:33], v[64:65], s[18:19], v[66:67]
	v_fma_f64 v[131:132], v[64:65], s[12:13], -v[40:41]
	v_fma_f64 v[38:39], v[64:65], s[22:23], -v[133:134]
	v_fma_f64 v[60:61], v[64:65], s[22:23], v[133:134]
	v_fma_f64 v[62:63], v[64:65], s[16:17], -v[153:154]
	v_fma_f64 v[40:41], v[64:65], s[12:13], v[40:41]
	;; [unrolled: 2-line block ×4, first 2 shown]
	v_add_f64_e32 v[4:5], v[14:15], v[4:5]
	v_fma_f64 v[14:15], v[64:65], s[18:19], -v[66:67]
	v_fma_f64 v[123:124], v[64:65], s[20:21], -v[18:19]
	v_fma_f64 v[66:67], v[64:65], s[16:17], v[153:154]
	v_fma_f64 v[18:19], v[64:65], s[20:21], v[18:19]
	v_add_f64_e32 v[48:49], v[129:130], v[48:49]
	v_add_f64_e32 v[26:27], v[137:138], v[26:27]
	;; [unrolled: 1-line block ×8, first 2 shown]
	v_fma_f64 v[153:154], v[64:65], s[2:3], -v[24:25]
	v_fma_f64 v[24:25], v[64:65], s[2:3], v[24:25]
	v_add_f64_e32 v[56:57], v[171:172], v[58:59]
	v_add_f64_e32 v[8:9], v[36:37], v[8:9]
	;; [unrolled: 1-line block ×25, first 2 shown]
                                        ; implicit-def: $vgpr38_vgpr39
                                        ; implicit-def: $vgpr40_vgpr41
	v_add_f64_e32 v[4:5], v[6:7], v[4:5]
	ds_store_2addr_b64 v0, v[14:15], v[26:27] offset0:4 offset1:5
	ds_store_2addr_b64 v0, v[34:35], v[42:43] offset0:6 offset1:7
	;; [unrolled: 1-line block ×6, first 2 shown]
	ds_store_b64 v0, v[28:29] offset:128
	ds_store_2addr_b64 v0, v[20:21], v[2:3] offset0:2 offset1:3
	ds_store_2addr_b64 v0, v[4:5], v[10:11] offset1:1
	global_wb scope:SCOPE_SE
	s_wait_dscnt 0x0
	s_barrier_signal -1
	s_barrier_wait -1
	global_inv scope:SCOPE_SE
	ds_load_2addr_b64 v[16:19], v1 offset0:33 offset1:152
	ds_load_2addr_b64 v[20:23], v118 offset0:66 offset1:185
	;; [unrolled: 1-line block ×6, first 2 shown]
	ds_load_b64 v[26:27], v115
	ds_load_b64 v[24:25], v116
                                        ; implicit-def: $vgpr34_vgpr35
                                        ; implicit-def: $vgpr36_vgpr37
	s_and_saveexec_b32 s1, s0
	s_cbranch_execz .LBB0_17
; %bb.16:
	ds_load_b64 v[32:33], v115 offset:4216
	ds_load_b64 v[28:29], v115 offset:6528
	;; [unrolled: 1-line block ×5, first 2 shown]
	ds_load_b64 v[30:31], v117
	ds_load_b64 v[34:35], v115 offset:15776
.LBB0_17:
	s_wait_alu 0xfffe
	s_or_b32 exec_lo, exec_lo, s1
	v_and_b32_e32 v42, 0xff, v112
	v_and_b32_e32 v43, 0xff, v114
	s_mov_b32 s14, 0x37e14327
	s_mov_b32 s6, 0x36b3c0b5
	;; [unrolled: 1-line block ×3, first 2 shown]
	v_mul_lo_u16 v42, 0xf1, v42
	s_mov_b32 s15, 0x3fe948f6
	s_mov_b32 s7, 0x3fac98ee
	;; [unrolled: 1-line block ×4, first 2 shown]
	v_lshrrev_b16 v92, 12, v42
	v_mul_lo_u16 v42, 0xf1, v43
	s_mov_b32 s3, 0xbfebfeb5
	s_mov_b32 s18, 0xaaaaaaaa
	;; [unrolled: 1-line block ×3, first 2 shown]
	v_mul_lo_u16 v43, v92, 17
	v_lshrrev_b16 v93, 12, v42
	s_mov_b32 s24, 0xb247c609
	s_mov_b32 s19, 0xbff2aaaa
	s_mov_b32 s13, 0x3fe77f67
	v_sub_nc_u16 v42, v112, v43
	v_mul_lo_u16 v43, v93, 17
	s_mov_b32 s21, 0xbfe77f67
	s_mov_b32 s25, 0xbfd5d0dc
	s_wait_alu 0xfffe
	s_mov_b32 s20, s12
	v_and_b32_e32 v190, 0xff, v42
	v_sub_nc_u16 v42, v114, v43
	s_mov_b32 s23, 0x3fd5d0dc
	s_mov_b32 s22, s24
	;; [unrolled: 1-line block ×3, first 2 shown]
	v_mul_u32_u24_e32 v43, 6, v190
	v_and_b32_e32 v191, 0xff, v42
	s_mov_b32 s27, 0xbfdc38aa
	s_delay_alu instid0(VALU_DEP_2) | instskip(NEXT) | instid1(VALU_DEP_2)
	v_lshlrev_b32_e32 v42, 4, v43
	v_mul_u32_u24_e32 v43, 6, v191
	s_clause 0x1
	global_load_b128 v[58:61], v42, s[4:5] offset:16
	global_load_b128 v[62:65], v42, s[4:5]
	v_lshlrev_b32_e32 v43, 4, v43
	s_clause 0x9
	global_load_b128 v[118:121], v42, s[4:5] offset:80
	global_load_b128 v[122:125], v42, s[4:5] offset:64
	global_load_b128 v[126:129], v43, s[4:5]
	global_load_b128 v[130:133], v43, s[4:5] offset:16
	global_load_b128 v[134:137], v43, s[4:5] offset:80
	global_load_b128 v[138:141], v43, s[4:5] offset:64
	global_load_b128 v[142:145], v42, s[4:5] offset:32
	global_load_b128 v[146:149], v42, s[4:5] offset:48
	global_load_b128 v[150:153], v43, s[4:5] offset:32
	global_load_b128 v[154:157], v43, s[4:5] offset:48
	v_and_b32_e32 v42, 0xffff, v113
	s_delay_alu instid0(VALU_DEP_1) | instskip(NEXT) | instid1(VALU_DEP_1)
	v_mul_u32_u24_e32 v42, 0xf0f1, v42
	v_lshrrev_b32_e32 v192, 20, v42
	s_delay_alu instid0(VALU_DEP_1) | instskip(NEXT) | instid1(VALU_DEP_1)
	v_mul_lo_u16 v42, v192, 17
	v_sub_nc_u16 v42, v113, v42
	s_delay_alu instid0(VALU_DEP_1) | instskip(NEXT) | instid1(VALU_DEP_1)
	v_and_b32_e32 v193, 0xffff, v42
	v_mul_u32_u24_e32 v42, 6, v193
	s_delay_alu instid0(VALU_DEP_1)
	v_lshlrev_b32_e32 v42, 4, v42
	s_clause 0x5
	global_load_b128 v[158:161], v42, s[4:5]
	global_load_b128 v[162:165], v42, s[4:5] offset:16
	global_load_b128 v[166:169], v42, s[4:5] offset:32
	;; [unrolled: 1-line block ×5, first 2 shown]
	global_wb scope:SCOPE_SE
	s_wait_loadcnt_dscnt 0x0
	s_barrier_signal -1
	s_barrier_wait -1
	global_inv scope:SCOPE_SE
	v_mul_f64_e32 v[46:47], v[4:5], v[120:121]
	v_mul_f64_e32 v[50:51], v[8:9], v[124:125]
	;; [unrolled: 1-line block ×22, first 2 shown]
	v_fma_f64 v[46:47], v[88:89], v[118:119], v[46:47]
	v_fma_f64 v[52:53], v[84:85], v[122:123], v[50:51]
	;; [unrolled: 1-line block ×4, first 2 shown]
	v_mul_f64_e32 v[76:77], v[86:87], v[140:141]
	v_fma_f64 v[44:45], v[78:79], v[126:127], v[54:55]
	v_fma_f64 v[54:55], v[82:83], v[130:131], v[56:57]
	;; [unrolled: 1-line block ×4, first 2 shown]
	v_mul_f64_e32 v[80:81], v[90:91], v[136:137]
	v_fma_f64 v[62:63], v[16:17], v[62:63], -v[64:65]
	v_fma_f64 v[60:61], v[20:21], v[58:59], -v[60:61]
	v_fma_f64 v[16:17], v[72:73], v[142:143], v[182:183]
	v_fma_f64 v[20:21], v[12:13], v[142:143], -v[144:145]
	v_fma_f64 v[12:13], v[68:69], v[146:147], v[184:185]
	v_fma_f64 v[58:59], v[0:1], v[146:147], -v[148:149]
	v_fma_f64 v[64:65], v[8:9], v[122:123], -v[124:125]
	;; [unrolled: 1-line block ×4, first 2 shown]
	v_fma_f64 v[0:1], v[74:75], v[150:151], v[186:187]
	v_fma_f64 v[4:5], v[14:15], v[150:151], -v[152:153]
	v_fma_f64 v[2:3], v[2:3], v[154:155], -v[156:157]
	;; [unrolled: 1-line block ×3, first 2 shown]
	v_mul_f64_e32 v[136:137], v[104:105], v[172:173]
	v_mul_f64_e32 v[140:141], v[102:103], v[176:177]
	;; [unrolled: 1-line block ×3, first 2 shown]
	v_add_f64_e32 v[68:69], v[48:49], v[52:53]
	v_add_f64_e32 v[22:23], v[42:43], v[46:47]
	v_fma_f64 v[14:15], v[10:11], v[138:139], -v[76:77]
	v_fma_f64 v[10:11], v[70:71], v[154:155], v[188:189]
	v_mul_f64_e32 v[138:139], v[36:37], v[176:177]
	v_add_f64_e32 v[70:71], v[44:45], v[50:51]
	v_add_f64_e32 v[72:73], v[54:55], v[56:57]
	v_fma_f64 v[6:7], v[6:7], v[134:135], -v[80:81]
	v_mul_f64_e32 v[134:135], v[38:39], v[172:173]
	v_add_f64_e32 v[74:75], v[16:17], v[12:13]
	v_add_f64_e64 v[78:79], v[58:59], -v[20:21]
	v_add_f64_e64 v[76:77], v[60:61], -v[64:65]
	;; [unrolled: 1-line block ×4, first 2 shown]
	v_fma_f64 v[38:39], v[38:39], v[170:171], -v[136:137]
	v_add_f64_e32 v[82:83], v[68:69], v[22:23]
	v_add_f64_e64 v[84:85], v[8:9], -v[14:15]
	v_add_f64_e32 v[86:87], v[0:1], v[10:11]
	v_add_f64_e32 v[113:114], v[72:73], v[70:71]
	v_add_f64_e64 v[90:91], v[18:19], -v[6:7]
	v_add_f64_e64 v[118:119], v[22:23], -v[74:75]
	v_add_f64_e64 v[120:121], v[74:75], -v[68:69]
	v_add_f64_e64 v[122:123], v[78:79], -v[76:77]
	v_add_f64_e64 v[124:125], v[76:77], -v[80:81]
	v_add_f64_e64 v[22:23], v[68:69], -v[22:23]
	v_add_f64_e32 v[68:69], v[78:79], v[76:77]
	v_add_f64_e64 v[76:77], v[80:81], -v[78:79]
	v_add_f64_e32 v[74:75], v[74:75], v[82:83]
	v_add_f64_e64 v[126:127], v[88:89], -v[84:85]
	v_add_f64_e64 v[82:83], v[70:71], -v[86:87]
	v_add_f64_e32 v[78:79], v[88:89], v[84:85]
	v_add_f64_e64 v[70:71], v[72:73], -v[70:71]
	v_add_f64_e32 v[113:114], v[86:87], v[113:114]
	v_add_f64_e64 v[86:87], v[86:87], -v[72:73]
	v_add_f64_e64 v[128:129], v[84:85], -v[90:91]
	;; [unrolled: 1-line block ×3, first 2 shown]
	v_mul_f64_e32 v[84:85], s[14:15], v[118:119]
	v_mul_f64_e32 v[118:119], s[6:7], v[120:121]
	;; [unrolled: 1-line block ×4, first 2 shown]
	v_add_f64_e32 v[68:69], v[68:69], v[80:81]
	v_add_f64_e32 v[110:111], v[110:111], v[74:75]
	v_mul_f64_e32 v[126:127], s[16:17], v[126:127]
	v_mul_f64_e32 v[82:83], s[14:15], v[82:83]
	v_add_f64_e32 v[78:79], v[78:79], v[90:91]
	v_add_f64_e32 v[108:109], v[108:109], v[113:114]
	v_mul_f64_e32 v[72:73], s[6:7], v[86:87]
	v_mul_f64_e32 v[132:133], s[2:3], v[128:129]
	v_fma_f64 v[80:81], v[120:121], s[6:7], v[84:85]
	v_fma_f64 v[90:91], v[22:23], s[12:13], -v[118:119]
	v_fma_f64 v[118:119], v[76:77], s[24:25], v[122:123]
	s_wait_alu 0xfffe
	v_fma_f64 v[22:23], v[22:23], s[20:21], -v[84:85]
	v_fma_f64 v[120:121], v[124:125], s[2:3], -v[122:123]
	;; [unrolled: 1-line block ×3, first 2 shown]
	v_mul_f64_e32 v[124:125], v[96:97], v[160:161]
	v_mul_f64_e32 v[130:131], v[40:41], v[168:169]
	v_fma_f64 v[74:75], v[74:75], s[18:19], v[110:111]
	v_fma_f64 v[122:123], v[128:129], s[2:3], -v[126:127]
	v_fma_f64 v[84:85], v[86:87], s[6:7], v[82:83]
	v_fma_f64 v[82:83], v[70:71], s[20:21], -v[82:83]
	v_fma_f64 v[86:87], v[88:89], s[24:25], v[126:127]
	v_fma_f64 v[113:114], v[113:114], s[18:19], v[108:109]
	v_fma_f64 v[70:71], v[70:71], s[12:13], -v[72:73]
	v_fma_f64 v[88:89], v[88:89], s[22:23], -v[132:133]
	v_mul_f64_e32 v[72:73], v[32:33], v[160:161]
	v_mul_f64_e32 v[126:127], v[28:29], v[164:165]
	v_mul_f64_e32 v[128:129], v[98:99], v[164:165]
	v_mul_f64_e32 v[132:133], v[106:107], v[168:169]
	v_fma_f64 v[118:119], v[68:69], s[26:27], v[118:119]
	v_fma_f64 v[120:121], v[68:69], s[26:27], v[120:121]
	;; [unrolled: 1-line block ×3, first 2 shown]
	v_add_f64_e32 v[146:147], v[80:81], v[74:75]
	v_add_f64_e32 v[22:23], v[22:23], v[74:75]
	;; [unrolled: 1-line block ×3, first 2 shown]
	v_fma_f64 v[122:123], v[78:79], s[26:27], v[122:123]
	v_fma_f64 v[86:87], v[78:79], s[26:27], v[86:87]
	v_add_f64_e32 v[84:85], v[84:85], v[113:114]
	v_add_f64_e32 v[148:149], v[82:83], v[113:114]
	;; [unrolled: 1-line block ×3, first 2 shown]
	v_mul_f64_e32 v[113:114], v[100:101], v[180:181]
	v_fma_f64 v[88:89], v[78:79], s[26:27], v[88:89]
	v_fma_f64 v[68:69], v[96:97], v[158:159], v[72:73]
	v_fma_f64 v[74:75], v[32:33], v[158:159], -v[124:125]
	v_fma_f64 v[32:33], v[98:99], v[162:163], v[126:127]
	v_fma_f64 v[76:77], v[28:29], v[162:163], -v[128:129]
	;; [unrolled: 2-line block ×3, first 2 shown]
	v_fma_f64 v[40:41], v[104:105], v[170:171], v[134:135]
	v_fma_f64 v[80:81], v[102:103], v[174:175], v[138:139]
	v_fma_f64 v[82:83], v[36:37], v[174:175], -v[140:141]
	v_fma_f64 v[36:37], v[100:101], v[178:179], v[142:143]
	v_add_f64_e32 v[28:29], v[118:119], v[146:147]
	v_add_f64_e32 v[96:97], v[144:145], v[22:23]
	v_add_f64_e64 v[98:99], v[90:91], -v[120:121]
	v_add_f64_e32 v[90:91], v[120:121], v[90:91]
	v_add_f64_e64 v[22:23], v[22:23], -v[144:145]
	v_add_f64_e64 v[100:101], v[146:147], -v[118:119]
	v_add_f64_e32 v[102:103], v[86:87], v[84:85]
	v_add_f64_e64 v[106:107], v[70:71], -v[122:123]
	v_fma_f64 v[34:35], v[34:35], v[178:179], -v[113:114]
	v_add_f64_e32 v[104:105], v[88:89], v[148:149]
	v_add_f64_e32 v[70:71], v[122:123], v[70:71]
	v_add_f64_e64 v[88:89], v[148:149], -v[88:89]
	v_add_f64_e64 v[118:119], v[84:85], -v[86:87]
	v_and_b32_e32 v84, 0xffff, v92
	v_and_b32_e32 v85, 0xffff, v93
	v_lshlrev_b32_e32 v87, 3, v190
	v_lshlrev_b32_e32 v93, 3, v191
	s_delay_alu instid0(VALU_DEP_4) | instskip(NEXT) | instid1(VALU_DEP_4)
	v_mul_u32_u24_e32 v86, 0x3b8, v84
	v_mul_u32_u24_e32 v92, 0x3b8, v85
	v_mul_lo_u16 v85, 0x77, v192
	v_lshlrev_b32_e32 v84, 3, v193
	s_delay_alu instid0(VALU_DEP_4) | instskip(NEXT) | instid1(VALU_DEP_4)
	v_add3_u32 v87, 0, v86, v87
	v_add3_u32 v86, 0, v92, v93
	ds_store_2addr_b64 v87, v[110:111], v[28:29] offset1:17
	ds_store_2addr_b64 v87, v[96:97], v[98:99] offset0:34 offset1:51
	ds_store_2addr_b64 v87, v[90:91], v[22:23] offset0:68 offset1:85
	ds_store_b64 v87, v[100:101] offset:816
	ds_store_2addr_b64 v86, v[108:109], v[102:103] offset1:17
	ds_store_2addr_b64 v86, v[104:105], v[106:107] offset0:34 offset1:51
	ds_store_2addr_b64 v86, v[70:71], v[88:89] offset0:68 offset1:85
	ds_store_b64 v86, v[118:119] offset:816
	s_and_saveexec_b32 s1, s0
	s_cbranch_execz .LBB0_19
; %bb.18:
	v_add_f64_e32 v[22:23], v[32:33], v[80:81]
	v_add_f64_e32 v[28:29], v[68:69], v[36:37]
	v_add_f64_e64 v[70:71], v[38:39], -v[78:79]
	v_add_f64_e64 v[88:89], v[76:77], -v[82:83]
	v_add_f64_e32 v[90:91], v[72:73], v[40:41]
	v_add_f64_e64 v[96:97], v[74:75], -v[34:35]
	v_add_f64_e32 v[98:99], v[22:23], v[28:29]
	s_delay_alu instid0(VALU_DEP_4) | instskip(NEXT) | instid1(VALU_DEP_4)
	v_add_f64_e64 v[100:101], v[70:71], -v[88:89]
	v_add_f64_e64 v[102:103], v[28:29], -v[90:91]
	s_delay_alu instid0(VALU_DEP_4)
	v_add_f64_e64 v[104:105], v[88:89], -v[96:97]
	v_add_f64_e32 v[88:89], v[70:71], v[88:89]
	v_add_f64_e64 v[70:71], v[96:97], -v[70:71]
	v_add_f64_e32 v[98:99], v[90:91], v[98:99]
	v_add_f64_e64 v[90:91], v[90:91], -v[22:23]
	v_add_f64_e64 v[22:23], v[22:23], -v[28:29]
	v_mul_f64_e32 v[28:29], s[16:17], v[100:101]
	v_mul_f64_e32 v[100:101], s[14:15], v[102:103]
	;; [unrolled: 1-line block ×3, first 2 shown]
	v_add_f64_e32 v[88:89], v[88:89], v[96:97]
	v_add_f64_e32 v[94:95], v[94:95], v[98:99]
	v_mul_f64_e32 v[106:107], s[6:7], v[90:91]
	v_fma_f64 v[96:97], v[70:71], s[24:25], v[28:29]
	v_fma_f64 v[90:91], v[90:91], s[6:7], v[100:101]
	v_fma_f64 v[108:109], v[22:23], s[20:21], -v[100:101]
	v_fma_f64 v[70:71], v[70:71], s[22:23], -v[102:103]
	;; [unrolled: 1-line block ×3, first 2 shown]
	v_fma_f64 v[98:99], v[98:99], s[18:19], v[94:95]
	v_fma_f64 v[22:23], v[22:23], s[12:13], -v[106:107]
	v_fma_f64 v[96:97], v[88:89], s[26:27], v[96:97]
	v_fma_f64 v[70:71], v[88:89], s[26:27], v[70:71]
	;; [unrolled: 1-line block ×3, first 2 shown]
	v_add_f64_e32 v[90:91], v[90:91], v[98:99]
	v_add_f64_e32 v[88:89], v[108:109], v[98:99]
	;; [unrolled: 1-line block ×3, first 2 shown]
	s_delay_alu instid0(VALU_DEP_3) | instskip(NEXT) | instid1(VALU_DEP_3)
	v_add_f64_e32 v[102:103], v[96:97], v[90:91]
	v_add_f64_e64 v[98:99], v[88:89], -v[70:71]
	s_delay_alu instid0(VALU_DEP_3) | instskip(SKIP_4) | instid1(VALU_DEP_1)
	v_add_f64_e64 v[100:101], v[22:23], -v[28:29]
	v_add_f64_e32 v[70:71], v[70:71], v[88:89]
	v_add_f64_e32 v[22:23], v[28:29], v[22:23]
	v_add_f64_e64 v[28:29], v[90:91], -v[96:97]
	v_and_b32_e32 v88, 0xffff, v85
	v_lshlrev_b32_e32 v88, 3, v88
	s_delay_alu instid0(VALU_DEP_1)
	v_add3_u32 v88, 0, v84, v88
	ds_store_2addr_b64 v88, v[94:95], v[102:103] offset1:17
	ds_store_2addr_b64 v88, v[70:71], v[100:101] offset0:34 offset1:51
	ds_store_2addr_b64 v88, v[22:23], v[98:99] offset0:68 offset1:85
	ds_store_b64 v88, v[28:29] offset:816
.LBB0_19:
	s_wait_alu 0xfffe
	s_or_b32 exec_lo, exec_lo, s1
	v_add_f64_e32 v[22:23], v[62:63], v[66:67]
	v_add_f64_e32 v[28:29], v[60:61], v[64:65]
	;; [unrolled: 1-line block ×5, first 2 shown]
	v_add_f64_e64 v[18:19], v[48:49], -v[52:53]
	v_add_f64_e64 v[12:13], v[12:13], -v[16:17]
	;; [unrolled: 1-line block ×4, first 2 shown]
	v_add_f64_e32 v[2:3], v[4:5], v[2:3]
	v_add_f64_e64 v[0:1], v[10:11], -v[0:1]
	v_add_f64_e64 v[4:5], v[44:45], -v[50:51]
	global_wb scope:SCOPE_SE
	s_wait_dscnt 0x0
	s_barrier_signal -1
	s_barrier_wait -1
	global_inv scope:SCOPE_SE
	ds_load_b64 v[98:99], v115
	ds_load_b64 v[70:71], v116
	;; [unrolled: 1-line block ×3, first 2 shown]
	v_add_f64_e32 v[20:21], v[28:29], v[22:23]
	v_add_f64_e32 v[10:11], v[8:9], v[6:7]
	v_add_f64_e64 v[44:45], v[22:23], -v[14:15]
	v_add_f64_e64 v[46:47], v[14:15], -v[28:29]
	;; [unrolled: 1-line block ×5, first 2 shown]
	v_add_f64_e32 v[18:19], v[12:13], v[18:19]
	v_add_f64_e64 v[52:53], v[0:1], -v[42:43]
	v_add_f64_e64 v[54:55], v[42:43], -v[4:5]
	;; [unrolled: 1-line block ×3, first 2 shown]
	v_add_f64_e32 v[28:29], v[0:1], v[42:43]
	v_add_f64_e64 v[0:1], v[4:5], -v[0:1]
	v_add_f64_e32 v[14:15], v[14:15], v[20:21]
	v_add_f64_e64 v[20:21], v[6:7], -v[2:3]
	;; [unrolled: 2-line block ×3, first 2 shown]
	v_mul_f64_e32 v[42:43], s[14:15], v[44:45]
	v_mul_f64_e32 v[44:45], s[6:7], v[46:47]
	v_mul_f64_e32 v[48:49], s[16:17], v[48:49]
	v_mul_f64_e32 v[56:57], s[2:3], v[50:51]
	v_add_f64_e64 v[6:7], v[8:9], -v[6:7]
	v_add_f64_e32 v[16:17], v[18:19], v[16:17]
	v_add_f64_e32 v[4:5], v[28:29], v[4:5]
	;; [unrolled: 1-line block ×3, first 2 shown]
	v_mul_f64_e32 v[20:21], s[14:15], v[20:21]
	v_mul_f64_e32 v[26:27], s[16:17], v[52:53]
	v_add_f64_e32 v[60:61], v[24:25], v[10:11]
	v_mul_f64_e32 v[52:53], s[2:3], v[54:55]
	v_mul_f64_e32 v[8:9], s[6:7], v[2:3]
	v_fma_f64 v[18:19], v[46:47], s[6:7], v[42:43]
	v_fma_f64 v[24:25], v[22:23], s[12:13], -v[44:45]
	v_fma_f64 v[28:29], v[12:13], s[24:25], v[48:49]
	v_fma_f64 v[44:45], v[50:51], s[2:3], -v[48:49]
	v_fma_f64 v[12:13], v[12:13], s[22:23], -v[56:57]
	;; [unrolled: 1-line block ×3, first 2 shown]
	v_fma_f64 v[14:15], v[14:15], s[18:19], v[58:59]
	v_fma_f64 v[2:3], v[2:3], s[6:7], v[20:21]
	v_fma_f64 v[42:43], v[0:1], s[24:25], v[26:27]
	v_fma_f64 v[10:11], v[10:11], s[18:19], v[60:61]
	v_fma_f64 v[26:27], v[54:55], s[2:3], -v[26:27]
	v_fma_f64 v[0:1], v[0:1], s[22:23], -v[52:53]
	;; [unrolled: 1-line block ×4, first 2 shown]
	v_fma_f64 v[8:9], v[16:17], s[26:27], v[28:29]
	v_fma_f64 v[28:29], v[16:17], s[26:27], v[44:45]
	;; [unrolled: 1-line block ×3, first 2 shown]
	v_add_f64_e32 v[16:17], v[18:19], v[14:15]
	v_add_f64_e32 v[18:19], v[22:23], v[14:15]
	v_add_f64_e32 v[14:15], v[24:25], v[14:15]
	v_fma_f64 v[22:23], v[4:5], s[26:27], v[42:43]
	v_add_f64_e32 v[2:3], v[2:3], v[10:11]
	v_fma_f64 v[24:25], v[4:5], s[26:27], v[26:27]
	v_fma_f64 v[0:1], v[4:5], s[26:27], v[0:1]
	v_add_f64_e32 v[4:5], v[20:21], v[10:11]
	v_add_f64_e32 v[6:7], v[6:7], v[10:11]
	v_add_f64_e64 v[42:43], v[16:17], -v[8:9]
	v_add_f64_e64 v[44:45], v[18:19], -v[12:13]
	v_add_f64_e32 v[46:47], v[28:29], v[14:15]
	v_add_f64_e64 v[48:49], v[14:15], -v[28:29]
	v_add_f64_e32 v[50:51], v[12:13], v[18:19]
	v_add_f64_e32 v[52:53], v[8:9], v[16:17]
	v_add_f64_e64 v[54:55], v[2:3], -v[22:23]
	v_add_f64_e64 v[56:57], v[4:5], -v[0:1]
	v_add_f64_e32 v[62:63], v[24:25], v[6:7]
	v_add_f64_e64 v[64:65], v[6:7], -v[24:25]
	v_add_f64_e32 v[88:89], v[0:1], v[4:5]
	v_add_f64_e32 v[90:91], v[22:23], v[2:3]
	v_add_nc_u32_e32 v0, 0x800, v115
	v_add_nc_u32_e32 v1, 0x1000, v115
	;; [unrolled: 1-line block ×7, first 2 shown]
	ds_load_2addr_b64 v[8:11], v0 offset0:101 offset1:220
	ds_load_2addr_b64 v[16:19], v1 offset0:83 offset1:202
	;; [unrolled: 1-line block ×7, first 2 shown]
	global_wb scope:SCOPE_SE
	s_wait_dscnt 0x0
	s_barrier_signal -1
	s_barrier_wait -1
	global_inv scope:SCOPE_SE
	ds_store_2addr_b64 v87, v[58:59], v[42:43] offset1:17
	ds_store_2addr_b64 v87, v[44:45], v[46:47] offset0:34 offset1:51
	ds_store_2addr_b64 v87, v[48:49], v[50:51] offset0:68 offset1:85
	ds_store_b64 v87, v[52:53] offset:816
	ds_store_2addr_b64 v86, v[60:61], v[54:55] offset1:17
	ds_store_2addr_b64 v86, v[56:57], v[62:63] offset0:34 offset1:51
	ds_store_2addr_b64 v86, v[64:65], v[88:89] offset0:68 offset1:85
	ds_store_b64 v86, v[90:91] offset:816
	s_and_saveexec_b32 s1, s0
	s_cbranch_execz .LBB0_21
; %bb.20:
	v_add_f64_e32 v[34:35], v[74:75], v[34:35]
	v_add_f64_e32 v[42:43], v[76:77], v[82:83]
	;; [unrolled: 1-line block ×3, first 2 shown]
	v_add_f64_e64 v[32:33], v[32:33], -v[80:81]
	v_add_f64_e64 v[40:41], v[40:41], -v[72:73]
	v_add_f64_e64 v[36:37], v[68:69], -v[36:37]
	s_mov_b32 s2, 0x37e14327
	s_mov_b32 s3, 0x3fe948f6
	;; [unrolled: 1-line block ×8, first 2 shown]
	v_and_b32_e32 v28, 0xffff, v85
	s_delay_alu instid0(VALU_DEP_1) | instskip(NEXT) | instid1(VALU_DEP_1)
	v_lshlrev_b32_e32 v28, 3, v28
	v_add3_u32 v28, 0, v84, v28
	v_add_f64_e32 v[44:45], v[42:43], v[34:35]
	v_add_f64_e64 v[46:47], v[34:35], -v[38:39]
	v_add_f64_e64 v[48:49], v[38:39], -v[42:43]
	;; [unrolled: 1-line block ×5, first 2 shown]
	v_add_f64_e32 v[32:33], v[40:41], v[32:33]
	v_add_f64_e64 v[40:41], v[36:37], -v[40:41]
	v_add_f64_e32 v[38:39], v[38:39], v[44:45]
	s_wait_alu 0xfffe
	v_mul_f64_e32 v[42:43], s[2:3], v[46:47]
	s_mov_b32 s2, 0x429ad128
	v_mul_f64_e32 v[44:45], s[6:7], v[48:49]
	v_mul_f64_e32 v[46:47], s[12:13], v[50:51]
	s_mov_b32 s3, 0xbfebfeb5
	s_mov_b32 s12, 0xaaaaaaaa
	s_wait_alu 0xfffe
	v_mul_f64_e32 v[50:51], s[2:3], v[52:53]
	s_mov_b32 s13, 0xbff2aaaa
	v_add_f64_e32 v[32:33], v[32:33], v[36:37]
	v_add_f64_e32 v[30:31], v[30:31], v[38:39]
	v_fma_f64 v[36:37], v[48:49], s[6:7], v[42:43]
	v_fma_f64 v[44:45], v[34:35], s[14:15], -v[44:45]
	s_mov_b32 s15, 0xbfe77f67
	v_fma_f64 v[48:49], v[40:41], s[16:17], v[46:47]
	s_mov_b32 s17, 0x3fd5d0dc
	v_fma_f64 v[46:47], v[52:53], s[2:3], -v[46:47]
	s_wait_alu 0xfffe
	v_fma_f64 v[40:41], v[40:41], s[16:17], -v[50:51]
	v_fma_f64 v[34:35], v[34:35], s[14:15], -v[42:43]
	s_mov_b32 s2, 0x37c3f68c
	s_mov_b32 s3, 0xbfdc38aa
	v_fma_f64 v[38:39], v[38:39], s[12:13], v[30:31]
	s_wait_alu 0xfffe
	v_fma_f64 v[42:43], v[32:33], s[2:3], v[48:49]
	v_fma_f64 v[46:47], v[32:33], s[2:3], v[46:47]
	;; [unrolled: 1-line block ×3, first 2 shown]
	s_delay_alu instid0(VALU_DEP_4) | instskip(SKIP_2) | instid1(VALU_DEP_3)
	v_add_f64_e32 v[36:37], v[36:37], v[38:39]
	v_add_f64_e32 v[34:35], v[34:35], v[38:39]
	;; [unrolled: 1-line block ×3, first 2 shown]
	v_add_f64_e64 v[40:41], v[36:37], -v[42:43]
	s_delay_alu instid0(VALU_DEP_3) | instskip(NEXT) | instid1(VALU_DEP_3)
	v_add_f64_e64 v[44:45], v[34:35], -v[32:33]
	v_add_f64_e32 v[48:49], v[46:47], v[38:39]
	v_add_f64_e64 v[38:39], v[38:39], -v[46:47]
	v_add_f64_e32 v[32:33], v[32:33], v[34:35]
	v_add_f64_e32 v[34:35], v[42:43], v[36:37]
	ds_store_2addr_b64 v28, v[30:31], v[40:41] offset1:17
	ds_store_2addr_b64 v28, v[44:45], v[48:49] offset0:34 offset1:51
	ds_store_2addr_b64 v28, v[38:39], v[32:33] offset0:68 offset1:85
	ds_store_b64 v28, v[34:35] offset:816
.LBB0_21:
	s_wait_alu 0xfffe
	s_or_b32 exec_lo, exec_lo, s1
	global_wb scope:SCOPE_SE
	s_wait_dscnt 0x0
	s_barrier_signal -1
	s_barrier_wait -1
	global_inv scope:SCOPE_SE
	s_and_saveexec_b32 s0, vcc_lo
	s_cbranch_execz .LBB0_23
; %bb.22:
	v_dual_mov_b32 v31, 0 :: v_dual_lshlrev_b32 v30, 4, v112
	v_add_nc_u32_e32 v28, 0x1800, v115
	s_mov_b32 s18, 0x2a9d6da3
	s_mov_b32 s24, 0x5d8e7cdc
	s_mov_b32 s19, 0x3fe58eea
	v_lshlrev_b64_e32 v[30:31], 4, v[30:31]
	s_mov_b32 s25, 0x3fd71e95
	s_mov_b32 s35, 0xbfd71e95
	;; [unrolled: 1-line block ×3, first 2 shown]
	s_wait_alu 0xfffe
	s_mov_b32 s34, s24
	s_mov_b32 s40, s18
	v_add_co_u32 v68, vcc_lo, s4, v30
	s_wait_alu 0xfffd
	v_add_co_ci_u32_e32 v69, vcc_lo, s5, v31, vcc_lo
	v_add_co_u32 v203, vcc_lo, s10, v231
	s_clause 0x1
	global_load_b128 v[32:35], v[68:69], off offset:1744
	global_load_b128 v[36:39], v[68:69], off offset:1728
	ds_load_2addr_b64 v[40:43], v28 offset0:65 offset1:184
	v_add_nc_u32_e32 v28, 0x2000, v115
	s_wait_alu 0xfffd
	v_add_co_ci_u32_e32 v204, vcc_lo, s11, v232, vcc_lo
	s_mov_b32 s4, 0x75d4884
	s_mov_b32 s0, 0x370991
	;; [unrolled: 1-line block ×7, first 2 shown]
	s_wait_alu 0xfffe
	s_mov_b32 s42, s22
	s_mov_b32 s2, 0x2b2883cd
	s_mov_b32 s3, 0x3fdc86fa
	s_mov_b32 s20, 0xeb564b22
	s_mov_b32 s21, 0x3fefdd0d
	s_mov_b32 s39, 0xbfefdd0d
	s_wait_alu 0xfffe
	s_mov_b32 s38, s20
	s_mov_b32 s6, 0x3259b75e
	;; [unrolled: 1-line block ×20, first 2 shown]
	s_wait_alu 0xfffe
	s_mov_b32 s46, s30
	s_mov_b32 s45, 0x3feec746
	;; [unrolled: 1-line block ×5, first 2 shown]
	v_add_nc_u32_e32 v86, 0x341, v202
	s_wait_loadcnt 0x1
	v_mul_f64_e32 v[30:31], v[26:27], v[32:33]
	v_mul_f64_e32 v[26:27], v[26:27], v[34:35]
	s_wait_dscnt 0x0
	s_delay_alu instid0(VALU_DEP_2) | instskip(NEXT) | instid1(VALU_DEP_2)
	v_fma_f64 v[30:31], v[42:43], v[34:35], v[30:31]
	v_fma_f64 v[26:27], v[42:43], v[32:33], -v[26:27]
	s_wait_loadcnt 0x0
	v_mul_f64_e32 v[32:33], v[24:25], v[36:37]
	v_mul_f64_e32 v[24:25], v[24:25], v[38:39]
	s_delay_alu instid0(VALU_DEP_2) | instskip(NEXT) | instid1(VALU_DEP_2)
	v_fma_f64 v[32:33], v[40:41], v[38:39], v[32:33]
	v_fma_f64 v[24:25], v[40:41], v[36:37], -v[24:25]
	s_clause 0x1
	global_load_b128 v[36:39], v[68:69], off offset:1760
	global_load_b128 v[40:43], v[68:69], off offset:1776
	ds_load_2addr_b64 v[44:47], v28 offset0:47 offset1:166
	v_add_nc_u32_e32 v28, 0x1000, v115
	s_wait_loadcnt 0x1
	v_mul_f64_e32 v[34:35], v[20:21], v[36:37]
	v_mul_f64_e32 v[20:21], v[20:21], v[38:39]
	s_wait_dscnt 0x0
	s_delay_alu instid0(VALU_DEP_2) | instskip(NEXT) | instid1(VALU_DEP_2)
	v_fma_f64 v[34:35], v[44:45], v[38:39], v[34:35]
	v_fma_f64 v[20:21], v[44:45], v[36:37], -v[20:21]
	s_wait_loadcnt 0x0
	v_mul_f64_e32 v[36:37], v[22:23], v[40:41]
	v_mul_f64_e32 v[22:23], v[22:23], v[42:43]
	s_delay_alu instid0(VALU_DEP_4) | instskip(NEXT) | instid1(VALU_DEP_4)
	v_add_f64_e64 v[168:169], v[30:31], -v[34:35]
	v_add_f64_e64 v[170:171], v[26:27], -v[20:21]
	s_delay_alu instid0(VALU_DEP_4) | instskip(NEXT) | instid1(VALU_DEP_4)
	v_fma_f64 v[36:37], v[46:47], v[42:43], v[36:37]
	v_fma_f64 v[22:23], v[46:47], v[40:41], -v[22:23]
	s_clause 0x1
	global_load_b128 v[40:43], v[68:69], off offset:1712
	global_load_b128 v[44:47], v[68:69], off offset:1696
	ds_load_2addr_b64 v[48:51], v28 offset0:83 offset1:202
	v_add_nc_u32_e32 v28, 0x2800, v115
	v_mul_f64_e32 v[233:234], s[28:29], v[168:169]
	v_mul_f64_e32 v[166:167], s[18:19], v[170:171]
	v_add_f64_e64 v[172:173], v[32:33], -v[36:37]
	v_add_f64_e64 v[174:175], v[24:25], -v[22:23]
	v_mul_f64_e32 v[235:236], s[28:29], v[170:171]
	v_mul_f64_e32 v[94:95], s[26:27], v[168:169]
	;; [unrolled: 1-line block ×5, first 2 shown]
	s_wait_loadcnt 0x1
	v_mul_f64_e32 v[38:39], v[18:19], v[40:41]
	v_mul_f64_e32 v[18:19], v[18:19], v[42:43]
	s_wait_dscnt 0x0
	s_delay_alu instid0(VALU_DEP_2) | instskip(NEXT) | instid1(VALU_DEP_2)
	v_fma_f64 v[38:39], v[50:51], v[42:43], v[38:39]
	v_fma_f64 v[18:19], v[50:51], v[40:41], -v[18:19]
	s_wait_loadcnt 0x0
	v_mul_f64_e32 v[40:41], v[16:17], v[44:45]
	v_mul_f64_e32 v[16:17], v[16:17], v[46:47]
	s_delay_alu instid0(VALU_DEP_2) | instskip(NEXT) | instid1(VALU_DEP_2)
	v_fma_f64 v[40:41], v[48:49], v[46:47], v[40:41]
	v_fma_f64 v[16:17], v[48:49], v[44:45], -v[16:17]
	s_clause 0x1
	global_load_b128 v[44:47], v[68:69], off offset:1792
	global_load_b128 v[48:51], v[68:69], off offset:1808
	ds_load_2addr_b64 v[52:55], v28 offset0:29 offset1:148
	v_add_nc_u32_e32 v28, 0x800, v115
	s_wait_loadcnt 0x1
	v_mul_f64_e32 v[42:43], v[12:13], v[44:45]
	v_mul_f64_e32 v[12:13], v[12:13], v[46:47]
	s_wait_dscnt 0x0
	s_delay_alu instid0(VALU_DEP_2) | instskip(NEXT) | instid1(VALU_DEP_2)
	v_fma_f64 v[42:43], v[52:53], v[46:47], v[42:43]
	v_fma_f64 v[12:13], v[52:53], v[44:45], -v[12:13]
	s_wait_loadcnt 0x0
	v_mul_f64_e32 v[44:45], v[14:15], v[48:49]
	v_mul_f64_e32 v[14:15], v[14:15], v[50:51]
	s_delay_alu instid0(VALU_DEP_4) | instskip(NEXT) | instid1(VALU_DEP_4)
	v_add_f64_e64 v[176:177], v[38:39], -v[42:43]
	v_add_f64_e64 v[178:179], v[18:19], -v[12:13]
	s_delay_alu instid0(VALU_DEP_4) | instskip(NEXT) | instid1(VALU_DEP_4)
	v_fma_f64 v[44:45], v[54:55], v[50:51], v[44:45]
	v_fma_f64 v[14:15], v[54:55], v[48:49], -v[14:15]
	s_clause 0x1
	global_load_b128 v[48:51], v[68:69], off offset:1680
	global_load_b128 v[54:57], v[68:69], off offset:1664
	ds_load_2addr_b64 v[58:61], v28 offset0:101 offset1:220
	v_add_nc_u32_e32 v28, 0x3000, v115
	v_mul_f64_e32 v[112:113], s[34:35], v[178:179]
	v_add_f64_e64 v[180:181], v[40:41], -v[44:45]
	v_add_f64_e64 v[182:183], v[16:17], -v[14:15]
	s_wait_alu 0xfffe
	s_delay_alu instid0(VALU_DEP_2)
	v_mul_f64_e32 v[88:89], s[46:47], v[180:181]
	v_mul_f64_e32 v[118:119], s[18:19], v[180:181]
	s_wait_loadcnt 0x1
	v_mul_f64_e32 v[46:47], v[10:11], v[48:49]
	v_mul_f64_e32 v[10:11], v[10:11], v[50:51]
	s_wait_dscnt 0x0
	s_delay_alu instid0(VALU_DEP_2) | instskip(NEXT) | instid1(VALU_DEP_2)
	v_fma_f64 v[46:47], v[60:61], v[50:51], v[46:47]
	v_fma_f64 v[48:49], v[60:61], v[48:49], -v[10:11]
	s_wait_loadcnt 0x0
	v_mul_f64_e32 v[10:11], v[8:9], v[54:55]
	v_mul_f64_e32 v[8:9], v[8:9], v[56:57]
	s_delay_alu instid0(VALU_DEP_2) | instskip(NEXT) | instid1(VALU_DEP_2)
	v_fma_f64 v[52:53], v[58:59], v[56:57], v[10:11]
	v_fma_f64 v[50:51], v[58:59], v[54:55], -v[8:9]
	s_clause 0x1
	global_load_b128 v[8:11], v[68:69], off offset:1824
	global_load_b128 v[58:61], v[68:69], off offset:1840
	ds_load_2addr_b64 v[62:65], v28 offset0:11 offset1:130
	v_add_nc_u32_e32 v28, 0x3400, v115
	s_wait_loadcnt 0x1
	v_mul_f64_e32 v[54:55], v[4:5], v[8:9]
	v_mul_f64_e32 v[4:5], v[4:5], v[10:11]
	s_wait_dscnt 0x0
	s_delay_alu instid0(VALU_DEP_2) | instskip(NEXT) | instid1(VALU_DEP_2)
	v_fma_f64 v[54:55], v[62:63], v[10:11], v[54:55]
	v_fma_f64 v[56:57], v[62:63], v[8:9], -v[4:5]
	s_wait_loadcnt 0x0
	v_mul_f64_e32 v[4:5], v[6:7], v[58:59]
	v_mul_f64_e32 v[6:7], v[6:7], v[60:61]
	s_delay_alu instid0(VALU_DEP_4) | instskip(NEXT) | instid1(VALU_DEP_4)
	v_add_f64_e64 v[184:185], v[46:47], -v[54:55]
	v_add_f64_e64 v[186:187], v[48:49], -v[56:57]
	s_delay_alu instid0(VALU_DEP_4) | instskip(NEXT) | instid1(VALU_DEP_4)
	v_fma_f64 v[60:61], v[64:65], v[60:61], v[4:5]
	v_fma_f64 v[58:59], v[64:65], v[58:59], -v[6:7]
	s_clause 0x1
	global_load_b128 v[4:7], v[68:69], off offset:1856
	global_load_b128 v[8:11], v[68:69], off offset:1872
	ds_load_2addr_b64 v[72:75], v28 offset0:121 offset1:240
	v_mul_f64_e32 v[90:91], s[36:37], v[184:185]
	v_mul_f64_e32 v[122:123], s[44:45], v[184:185]
	v_add_f64_e64 v[188:189], v[52:53], -v[60:61]
	v_add_f64_e64 v[190:191], v[50:51], -v[58:59]
	v_mul_f64_e32 v[120:121], s[44:45], v[186:187]
	s_delay_alu instid0(VALU_DEP_3) | instskip(NEXT) | instid1(VALU_DEP_3)
	v_mul_f64_e32 v[82:83], s[28:29], v[188:189]
	v_mul_f64_e32 v[84:85], s[28:29], v[190:191]
	;; [unrolled: 1-line block ×4, first 2 shown]
	s_mov_b32 s49, 0x3fe9895b
	s_mov_b32 s48, s28
	s_wait_loadcnt 0x1
	v_mul_f64_e32 v[62:63], v[0:1], v[4:5]
	v_mul_f64_e32 v[0:1], v[0:1], v[6:7]
	s_wait_dscnt 0x0
	s_delay_alu instid0(VALU_DEP_2) | instskip(NEXT) | instid1(VALU_DEP_2)
	v_fma_f64 v[62:63], v[72:73], v[6:7], v[62:63]
	v_fma_f64 v[0:1], v[72:73], v[4:5], -v[0:1]
	s_wait_loadcnt 0x0
	v_mul_f64_e32 v[4:5], v[2:3], v[8:9]
	v_mul_f64_e32 v[2:3], v[2:3], v[10:11]
	s_delay_alu instid0(VALU_DEP_2) | instskip(NEXT) | instid1(VALU_DEP_2)
	v_fma_f64 v[64:65], v[74:75], v[10:11], v[4:5]
	v_fma_f64 v[2:3], v[74:75], v[8:9], -v[2:3]
	s_clause 0x1
	global_load_b128 v[4:7], v[68:69], off offset:1648
	global_load_b128 v[8:11], v[68:69], off offset:1632
	ds_load_b64 v[72:73], v117
	s_wait_loadcnt 0x1
	v_mul_f64_e32 v[68:69], v[66:67], v[4:5]
	v_mul_f64_e32 v[66:67], v[66:67], v[6:7]
	s_wait_dscnt 0x0
	s_delay_alu instid0(VALU_DEP_2) | instskip(NEXT) | instid1(VALU_DEP_2)
	v_fma_f64 v[68:69], v[72:73], v[6:7], v[68:69]
	v_fma_f64 v[66:67], v[72:73], v[4:5], -v[66:67]
	s_wait_loadcnt 0x0
	v_mul_f64_e32 v[6:7], v[70:71], v[10:11]
	v_mul_f64_e32 v[72:73], v[70:71], v[8:9]
	ds_load_b64 v[74:75], v116
	ds_load_b64 v[4:5], v115
	v_mul_f64_e32 v[116:117], s[18:19], v[182:183]
	v_mul_f64_e32 v[114:115], s[34:35], v[176:177]
	v_add_f64_e64 v[194:195], v[68:69], -v[62:63]
	v_add_f64_e64 v[192:193], v[66:67], -v[0:1]
	s_wait_dscnt 0x1
	v_fma_f64 v[70:71], v[74:75], v[8:9], -v[6:7]
	v_fma_f64 v[72:73], v[74:75], v[10:11], v[72:73]
	s_delay_alu instid0(VALU_DEP_4) | instskip(NEXT) | instid1(VALU_DEP_4)
	v_mul_f64_e32 v[128:129], s[28:29], v[194:195]
	v_mul_f64_e32 v[28:29], s[40:41], v[192:193]
	s_wait_dscnt 0x0
	s_delay_alu instid0(VALU_DEP_4) | instskip(NEXT) | instid1(VALU_DEP_4)
	v_add_f64_e32 v[6:7], v[4:5], v[70:71]
	v_add_f64_e32 v[8:9], v[98:99], v[72:73]
	v_add_f64_e64 v[198:199], v[72:73], -v[64:65]
	v_add_f64_e64 v[196:197], v[70:71], -v[2:3]
	v_mul_f64_e32 v[130:131], s[28:29], v[192:193]
	v_mul_f64_e32 v[144:145], s[36:37], v[192:193]
	;; [unrolled: 1-line block ×5, first 2 shown]
	scratch_store_b64 off, v[28:29], off offset:104 ; 8-byte Folded Spill
	v_add_f64_e32 v[6:7], v[66:67], v[6:7]
	v_add_f64_e32 v[8:9], v[68:69], v[8:9]
	v_mul_f64_e32 v[102:103], s[40:41], v[198:199]
	v_mul_f64_e32 v[100:101], s[40:41], v[196:197]
	;; [unrolled: 1-line block ×7, first 2 shown]
	v_add_f64_e32 v[6:7], v[50:51], v[6:7]
	v_add_f64_e32 v[8:9], v[52:53], v[8:9]
	s_delay_alu instid0(VALU_DEP_2) | instskip(NEXT) | instid1(VALU_DEP_2)
	v_add_f64_e32 v[6:7], v[48:49], v[6:7]
	v_add_f64_e32 v[8:9], v[46:47], v[8:9]
	s_delay_alu instid0(VALU_DEP_2) | instskip(NEXT) | instid1(VALU_DEP_2)
	;; [unrolled: 3-line block ×13, first 2 shown]
	v_add_f64_e32 v[8:9], v[2:3], v[6:7]
	v_add_f64_e32 v[6:7], v[64:65], v[10:11]
	v_mad_co_u64_u32 v[10:11], null, s8, v202, 0
	s_delay_alu instid0(VALU_DEP_1) | instskip(NEXT) | instid1(VALU_DEP_1)
	v_mad_co_u64_u32 v[74:75], null, s9, v202, v[11:12]
	v_mov_b32_e32 v11, v74
	s_delay_alu instid0(VALU_DEP_1) | instskip(NEXT) | instid1(VALU_DEP_1)
	v_lshlrev_b64_e32 v[10:11], 4, v[10:11]
	v_add_co_u32 v10, vcc_lo, v203, v10
	s_wait_alu 0xfffd
	s_delay_alu instid0(VALU_DEP_2)
	v_add_co_ci_u32_e32 v11, vcc_lo, v204, v11, vcc_lo
	global_store_b128 v[10:11], v[6:9], off
	v_add_f64_e32 v[8:9], v[26:27], v[20:21]
	v_add_f64_e32 v[10:11], v[32:33], v[36:37]
	v_add_f64_e32 v[20:21], v[24:25], v[22:23]
	v_add_f64_e32 v[24:25], v[18:19], v[12:13]
	v_add_f64_e32 v[12:13], v[40:41], v[44:45]
	v_add_f64_e32 v[26:27], v[52:53], v[60:61]
	v_add_f64_e32 v[32:33], v[68:69], v[62:63]
	v_add_f64_e32 v[40:41], v[66:67], v[0:1]
	v_add_f64_e32 v[52:53], v[70:71], v[2:3]
	v_mul_f64_e32 v[0:1], s[34:35], v[198:199]
	v_add_f64_e32 v[6:7], v[30:31], v[34:35]
	v_mul_f64_e32 v[2:3], s[40:41], v[194:195]
	v_add_f64_e32 v[18:19], v[16:17], v[14:15]
	v_add_f64_e32 v[14:15], v[46:47], v[54:55]
	;; [unrolled: 1-line block ×6, first 2 shown]
	v_mul_f64_e32 v[58:59], s[38:39], v[194:195]
	v_mul_f64_e32 v[56:57], s[38:39], v[192:193]
	;; [unrolled: 1-line block ×5, first 2 shown]
	v_fma_f64 v[34:35], v[32:33], s[4:5], v[28:29]
	v_mul_f64_e32 v[28:29], s[42:43], v[188:189]
	v_fma_f64 v[142:143], v[32:33], s[14:15], v[144:145]
	scratch_store_b64 off, v[0:1], off offset:112 ; 8-byte Folded Spill
	v_fma_f64 v[0:1], v[52:53], s[0:1], -v[0:1]
	scratch_store_b64 off, v[2:3], off offset:96 ; 8-byte Folded Spill
	v_fma_f64 v[2:3], v[40:41], s[4:5], -v[2:3]
	v_fma_f64 v[211:212], v[32:33], s[10:11], v[209:210]
	v_fma_f64 v[243:244], v[32:33], s[12:13], v[241:242]
	;; [unrolled: 1-line block ×4, first 2 shown]
	v_fma_f64 v[36:37], v[24:25], s[4:5], -v[50:51]
	scratch_store_b64 off, v[28:29], off offset:88 ; 8-byte Folded Spill
	v_add_f64_e32 v[0:1], v[4:5], v[0:1]
	s_delay_alu instid0(VALU_DEP_1) | instskip(SKIP_3) | instid1(VALU_DEP_1)
	v_add_f64_e32 v[0:1], v[2:3], v[0:1]
	v_mul_f64_e32 v[2:3], s[34:35], v[196:197]
	scratch_store_b64 off, v[2:3], off offset:120 ; 8-byte Folded Spill
	v_fma_f64 v[2:3], v[46:47], s[0:1], v[2:3]
	v_add_f64_e32 v[2:3], v[98:99], v[2:3]
	s_delay_alu instid0(VALU_DEP_1) | instskip(SKIP_2) | instid1(VALU_DEP_2)
	v_add_f64_e32 v[2:3], v[34:35], v[2:3]
	v_fma_f64 v[34:35], v[30:31], s[2:3], -v[28:29]
	v_mul_f64_e32 v[28:29], s[42:43], v[190:191]
	v_add_f64_e32 v[0:1], v[34:35], v[0:1]
	scratch_store_b64 off, v[28:29], off offset:72 ; 8-byte Folded Spill
	v_fma_f64 v[34:35], v[26:27], s[2:3], v[28:29]
	v_mul_f64_e32 v[28:29], s[38:39], v[184:185]
	s_delay_alu instid0(VALU_DEP_2) | instskip(SKIP_3) | instid1(VALU_DEP_2)
	v_add_f64_e32 v[2:3], v[34:35], v[2:3]
	scratch_store_b64 off, v[28:29], off offset:80 ; 8-byte Folded Spill
	v_fma_f64 v[34:35], v[16:17], s[6:7], -v[28:29]
	v_mul_f64_e32 v[28:29], s[38:39], v[186:187]
	v_add_f64_e32 v[0:1], v[34:35], v[0:1]
	scratch_store_b64 off, v[28:29], off offset:56 ; 8-byte Folded Spill
	v_fma_f64 v[34:35], v[14:15], s[6:7], v[28:29]
	v_mul_f64_e32 v[28:29], s[26:27], v[180:181]
	s_delay_alu instid0(VALU_DEP_2) | instskip(SKIP_3) | instid1(VALU_DEP_2)
	v_add_f64_e32 v[2:3], v[34:35], v[2:3]
	scratch_store_b64 off, v[28:29], off offset:64 ; 8-byte Folded Spill
	;; [unrolled: 9-line block ×4, first 2 shown]
	v_fma_f64 v[34:35], v[20:21], s[10:11], -v[28:29]
	v_mul_f64_e32 v[28:29], s[30:31], v[174:175]
	v_add_f64_e32 v[0:1], v[34:35], v[0:1]
	s_delay_alu instid0(VALU_DEP_2) | instskip(NEXT) | instid1(VALU_DEP_1)
	v_fma_f64 v[34:35], v[10:11], s[10:11], v[28:29]
	v_add_f64_e32 v[72:73], v[34:35], v[2:3]
	v_mul_f64_e32 v[2:3], s[36:37], v[168:169]
	scratch_store_b64 off, v[2:3], off offset:16 ; 8-byte Folded Spill
	v_fma_f64 v[2:3], v[8:9], s[14:15], -v[2:3]
	s_delay_alu instid0(VALU_DEP_1)
	v_add_f64_e32 v[2:3], v[2:3], v[0:1]
	v_mul_f64_e32 v[0:1], s[36:37], v[170:171]
	scratch_store_b64 off, v[28:29], off offset:8 ; 8-byte Folded Spill
	v_add_nc_u32_e32 v28, 0x77, v202
	scratch_store_b64 off, v[0:1], off      ; 8-byte Folded Spill
	v_fma_f64 v[0:1], v[6:7], s[14:15], v[0:1]
	s_delay_alu instid0(VALU_DEP_1) | instskip(SKIP_1) | instid1(VALU_DEP_1)
	v_add_f64_e32 v[0:1], v[0:1], v[72:73]
	v_mad_co_u64_u32 v[72:73], null, s8, v28, 0
	v_mad_co_u64_u32 v[73:74], null, s9, v28, v[73:74]
	v_mul_f64_e32 v[28:29], s[36:37], v[186:187]
	s_delay_alu instid0(VALU_DEP_2) | instskip(NEXT) | instid1(VALU_DEP_1)
	v_lshlrev_b64_e32 v[72:73], 4, v[72:73]
	v_add_co_u32 v72, vcc_lo, v203, v72
	s_wait_alu 0xfffd
	s_delay_alu instid0(VALU_DEP_2)
	v_add_co_ci_u32_e32 v73, vcc_lo, v204, v73, vcc_lo
	global_store_b128 v[72:73], v[0:3], off
	v_fma_f64 v[0:1], v[52:53], s[4:5], -v[102:103]
	v_fma_f64 v[2:3], v[40:41], s[6:7], -v[58:59]
	v_fma_f64 v[72:73], v[32:33], s[6:7], v[56:57]
	scratch_store_b64 off, v[28:29], off offset:184 ; 8-byte Folded Spill
	v_add_f64_e32 v[0:1], v[4:5], v[0:1]
	s_delay_alu instid0(VALU_DEP_1) | instskip(SKIP_1) | instid1(VALU_DEP_1)
	v_add_f64_e32 v[0:1], v[2:3], v[0:1]
	v_fma_f64 v[2:3], v[46:47], s[4:5], v[100:101]
	v_add_f64_e32 v[2:3], v[98:99], v[2:3]
	s_delay_alu instid0(VALU_DEP_1) | instskip(SKIP_1) | instid1(VALU_DEP_1)
	v_add_f64_e32 v[2:3], v[72:73], v[2:3]
	v_fma_f64 v[72:73], v[30:31], s[16:17], -v[82:83]
	v_add_f64_e32 v[0:1], v[72:73], v[0:1]
	v_fma_f64 v[72:73], v[26:27], s[16:17], v[84:85]
	s_delay_alu instid0(VALU_DEP_1) | instskip(SKIP_1) | instid1(VALU_DEP_1)
	v_add_f64_e32 v[2:3], v[72:73], v[2:3]
	v_fma_f64 v[72:73], v[16:17], s[14:15], -v[90:91]
	v_add_f64_e32 v[0:1], v[72:73], v[0:1]
	v_fma_f64 v[72:73], v[14:15], s[14:15], v[28:29]
	v_mul_f64_e32 v[28:29], s[46:47], v[182:183]
	s_delay_alu instid0(VALU_DEP_2)
	v_add_f64_e32 v[2:3], v[72:73], v[2:3]
	v_fma_f64 v[72:73], v[18:19], s[10:11], -v[88:89]
	scratch_store_b64 off, v[28:29], off offset:168 ; 8-byte Folded Spill
	v_add_f64_e32 v[0:1], v[72:73], v[0:1]
	v_fma_f64 v[72:73], v[12:13], s[10:11], v[28:29]
	v_mul_f64_e32 v[28:29], s[44:45], v[176:177]
	s_delay_alu instid0(VALU_DEP_2) | instskip(SKIP_3) | instid1(VALU_DEP_2)
	v_add_f64_e32 v[2:3], v[72:73], v[2:3]
	scratch_store_b64 off, v[28:29], off offset:176 ; 8-byte Folded Spill
	v_fma_f64 v[72:73], v[24:25], s[12:13], -v[28:29]
	v_mul_f64_e32 v[28:29], s[44:45], v[178:179]
	v_add_f64_e32 v[0:1], v[72:73], v[0:1]
	scratch_store_b64 off, v[28:29], off offset:160 ; 8-byte Folded Spill
	v_fma_f64 v[72:73], v[22:23], s[12:13], v[28:29]
	v_mul_f64_e32 v[28:29], s[22:23], v[172:173]
	s_delay_alu instid0(VALU_DEP_2) | instskip(SKIP_3) | instid1(VALU_DEP_2)
	v_add_f64_e32 v[2:3], v[72:73], v[2:3]
	scratch_store_b64 off, v[28:29], off offset:152 ; 8-byte Folded Spill
	v_fma_f64 v[72:73], v[20:21], s[2:3], -v[28:29]
	v_mul_f64_e32 v[28:29], s[22:23], v[174:175]
	v_add_f64_e32 v[0:1], v[72:73], v[0:1]
	s_delay_alu instid0(VALU_DEP_2) | instskip(NEXT) | instid1(VALU_DEP_1)
	v_fma_f64 v[72:73], v[10:11], s[2:3], v[28:29]
	v_add_f64_e32 v[104:105], v[72:73], v[2:3]
	v_mul_f64_e32 v[2:3], s[24:25], v[168:169]
	scratch_store_b64 off, v[28:29], off offset:144 ; 8-byte Folded Spill
	v_add_nc_u32_e32 v28, 0xee, v202
	scratch_store_b64 off, v[2:3], off offset:128 ; 8-byte Folded Spill
	v_fma_f64 v[2:3], v[8:9], s[0:1], -v[2:3]
	s_delay_alu instid0(VALU_DEP_1) | instskip(SKIP_3) | instid1(VALU_DEP_1)
	v_add_f64_e32 v[2:3], v[2:3], v[0:1]
	v_mul_f64_e32 v[0:1], s[24:25], v[170:171]
	scratch_store_b64 off, v[0:1], off offset:136 ; 8-byte Folded Spill
	v_fma_f64 v[0:1], v[6:7], s[0:1], v[0:1]
	v_add_f64_e32 v[0:1], v[0:1], v[104:105]
	v_mad_co_u64_u32 v[104:105], null, s8, v28, 0
	s_delay_alu instid0(VALU_DEP_1) | instskip(SKIP_2) | instid1(VALU_DEP_3)
	v_mad_co_u64_u32 v[105:106], null, s9, v28, v[105:106]
	v_mul_f64_e32 v[106:107], s[30:31], v[170:171]
	v_add_nc_u32_e32 v28, 0x165, v202
	v_lshlrev_b64_e32 v[104:105], 4, v[104:105]
	s_delay_alu instid0(VALU_DEP_1) | instskip(SKIP_1) | instid1(VALU_DEP_2)
	v_add_co_u32 v104, vcc_lo, v203, v104
	s_wait_alu 0xfffd
	v_add_co_ci_u32_e32 v105, vcc_lo, v204, v105, vcc_lo
	global_store_b128 v[104:105], v[0:3], off
	v_fma_f64 v[0:1], v[52:53], s[2:3], -v[134:135]
	v_fma_f64 v[2:3], v[40:41], s[16:17], -v[128:129]
	v_fma_f64 v[104:105], v[32:33], s[16:17], v[130:131]
	s_delay_alu instid0(VALU_DEP_3) | instskip(NEXT) | instid1(VALU_DEP_1)
	v_add_f64_e32 v[0:1], v[4:5], v[0:1]
	v_add_f64_e32 v[0:1], v[2:3], v[0:1]
	v_fma_f64 v[2:3], v[46:47], s[2:3], v[132:133]
	s_delay_alu instid0(VALU_DEP_1) | instskip(NEXT) | instid1(VALU_DEP_1)
	v_add_f64_e32 v[2:3], v[98:99], v[2:3]
	v_add_f64_e32 v[2:3], v[104:105], v[2:3]
	v_fma_f64 v[104:105], v[30:31], s[14:15], -v[126:127]
	s_delay_alu instid0(VALU_DEP_1) | instskip(SKIP_1) | instid1(VALU_DEP_1)
	v_add_f64_e32 v[0:1], v[104:105], v[0:1]
	v_fma_f64 v[104:105], v[26:27], s[14:15], v[124:125]
	v_add_f64_e32 v[2:3], v[104:105], v[2:3]
	v_fma_f64 v[104:105], v[16:17], s[12:13], -v[122:123]
	s_delay_alu instid0(VALU_DEP_1) | instskip(SKIP_1) | instid1(VALU_DEP_1)
	v_add_f64_e32 v[0:1], v[104:105], v[0:1]
	v_fma_f64 v[104:105], v[14:15], s[12:13], v[120:121]
	v_add_f64_e32 v[2:3], v[104:105], v[2:3]
	v_fma_f64 v[104:105], v[18:19], s[4:5], -v[118:119]
	s_delay_alu instid0(VALU_DEP_1) | instskip(SKIP_1) | instid1(VALU_DEP_1)
	v_add_f64_e32 v[0:1], v[104:105], v[0:1]
	v_fma_f64 v[104:105], v[12:13], s[4:5], v[116:117]
	v_add_f64_e32 v[2:3], v[104:105], v[2:3]
	v_fma_f64 v[104:105], v[24:25], s[0:1], -v[114:115]
	s_delay_alu instid0(VALU_DEP_1) | instskip(SKIP_1) | instid1(VALU_DEP_1)
	v_add_f64_e32 v[0:1], v[104:105], v[0:1]
	v_fma_f64 v[104:105], v[22:23], s[0:1], v[112:113]
	v_add_f64_e32 v[2:3], v[104:105], v[2:3]
	v_fma_f64 v[104:105], v[20:21], s[6:7], -v[110:111]
	s_delay_alu instid0(VALU_DEP_1) | instskip(SKIP_1) | instid1(VALU_DEP_1)
	v_add_f64_e32 v[0:1], v[104:105], v[0:1]
	v_fma_f64 v[104:105], v[10:11], s[6:7], v[108:109]
	v_add_f64_e32 v[136:137], v[104:105], v[2:3]
	v_mul_f64_e32 v[104:105], s[30:31], v[168:169]
	s_delay_alu instid0(VALU_DEP_1) | instskip(NEXT) | instid1(VALU_DEP_1)
	v_fma_f64 v[2:3], v[8:9], s[10:11], -v[104:105]
	v_add_f64_e32 v[2:3], v[2:3], v[0:1]
	v_fma_f64 v[0:1], v[6:7], s[10:11], v[106:107]
	s_delay_alu instid0(VALU_DEP_1) | instskip(SKIP_1) | instid1(VALU_DEP_1)
	v_add_f64_e32 v[0:1], v[0:1], v[136:137]
	v_mad_co_u64_u32 v[136:137], null, s8, v28, 0
	v_mad_co_u64_u32 v[137:138], null, s9, v28, v[137:138]
	v_mul_f64_e32 v[138:139], s[36:37], v[194:195]
	v_add_nc_u32_e32 v28, 0x1dc, v202
	s_delay_alu instid0(VALU_DEP_3) | instskip(NEXT) | instid1(VALU_DEP_1)
	v_lshlrev_b64_e32 v[136:137], 4, v[136:137]
	v_add_co_u32 v136, vcc_lo, v203, v136
	s_wait_alu 0xfffd
	s_delay_alu instid0(VALU_DEP_2) | instskip(SKIP_3) | instid1(VALU_DEP_2)
	v_add_co_ci_u32_e32 v137, vcc_lo, v204, v137, vcc_lo
	global_store_b128 v[136:137], v[0:3], off
	v_mul_f64_e32 v[136:137], s[38:39], v[198:199]
	v_fma_f64 v[2:3], v[40:41], s[14:15], -v[138:139]
	v_fma_f64 v[0:1], v[52:53], s[6:7], -v[136:137]
	s_delay_alu instid0(VALU_DEP_1) | instskip(NEXT) | instid1(VALU_DEP_1)
	v_add_f64_e32 v[0:1], v[4:5], v[0:1]
	v_add_f64_e32 v[0:1], v[2:3], v[0:1]
	v_fma_f64 v[2:3], v[46:47], s[6:7], v[140:141]
	s_delay_alu instid0(VALU_DEP_1) | instskip(NEXT) | instid1(VALU_DEP_1)
	v_add_f64_e32 v[2:3], v[98:99], v[2:3]
	v_add_f64_e32 v[2:3], v[142:143], v[2:3]
	v_mul_f64_e32 v[142:143], s[44:45], v[188:189]
	s_delay_alu instid0(VALU_DEP_1) | instskip(NEXT) | instid1(VALU_DEP_1)
	v_fma_f64 v[146:147], v[30:31], s[12:13], -v[142:143]
	v_add_f64_e32 v[0:1], v[146:147], v[0:1]
	v_mul_f64_e32 v[146:147], s[44:45], v[190:191]
	s_delay_alu instid0(VALU_DEP_1) | instskip(NEXT) | instid1(VALU_DEP_1)
	v_fma_f64 v[148:149], v[26:27], s[12:13], v[146:147]
	v_add_f64_e32 v[2:3], v[148:149], v[2:3]
	v_mul_f64_e32 v[148:149], s[24:25], v[184:185]
	s_delay_alu instid0(VALU_DEP_1) | instskip(NEXT) | instid1(VALU_DEP_1)
	v_fma_f64 v[150:151], v[16:17], s[0:1], -v[148:149]
	v_add_f64_e32 v[0:1], v[150:151], v[0:1]
	v_mul_f64_e32 v[150:151], s[24:25], v[186:187]
	s_delay_alu instid0(VALU_DEP_1) | instskip(NEXT) | instid1(VALU_DEP_1)
	v_fma_f64 v[152:153], v[14:15], s[0:1], v[150:151]
	v_add_f64_e32 v[2:3], v[152:153], v[2:3]
	v_mul_f64_e32 v[152:153], s[42:43], v[180:181]
	s_delay_alu instid0(VALU_DEP_1) | instskip(NEXT) | instid1(VALU_DEP_1)
	v_fma_f64 v[154:155], v[18:19], s[2:3], -v[152:153]
	v_add_f64_e32 v[0:1], v[154:155], v[0:1]
	v_mul_f64_e32 v[154:155], s[42:43], v[182:183]
	s_delay_alu instid0(VALU_DEP_1) | instskip(NEXT) | instid1(VALU_DEP_1)
	v_fma_f64 v[156:157], v[12:13], s[2:3], v[154:155]
	v_add_f64_e32 v[2:3], v[156:157], v[2:3]
	v_mul_f64_e32 v[156:157], s[30:31], v[176:177]
	s_delay_alu instid0(VALU_DEP_1) | instskip(NEXT) | instid1(VALU_DEP_1)
	v_fma_f64 v[158:159], v[24:25], s[10:11], -v[156:157]
	v_add_f64_e32 v[0:1], v[158:159], v[0:1]
	v_mul_f64_e32 v[158:159], s[30:31], v[178:179]
	s_delay_alu instid0(VALU_DEP_1) | instskip(NEXT) | instid1(VALU_DEP_1)
	v_fma_f64 v[160:161], v[22:23], s[10:11], v[158:159]
	v_add_f64_e32 v[2:3], v[160:161], v[2:3]
	s_wait_alu 0xfffe
	v_mul_f64_e32 v[160:161], s[48:49], v[172:173]
	s_delay_alu instid0(VALU_DEP_1) | instskip(NEXT) | instid1(VALU_DEP_1)
	v_fma_f64 v[162:163], v[20:21], s[16:17], -v[160:161]
	v_add_f64_e32 v[0:1], v[162:163], v[0:1]
	v_mul_f64_e32 v[162:163], s[48:49], v[174:175]
	s_delay_alu instid0(VALU_DEP_1) | instskip(NEXT) | instid1(VALU_DEP_1)
	v_fma_f64 v[164:165], v[10:11], s[16:17], v[162:163]
	v_add_f64_e32 v[200:201], v[164:165], v[2:3]
	v_mul_f64_e32 v[164:165], s[18:19], v[168:169]
	s_delay_alu instid0(VALU_DEP_1) | instskip(NEXT) | instid1(VALU_DEP_1)
	v_fma_f64 v[2:3], v[8:9], s[4:5], -v[164:165]
	v_add_f64_e32 v[2:3], v[2:3], v[0:1]
	v_fma_f64 v[0:1], v[6:7], s[4:5], v[166:167]
	s_delay_alu instid0(VALU_DEP_1) | instskip(SKIP_1) | instid1(VALU_DEP_1)
	v_add_f64_e32 v[0:1], v[0:1], v[200:201]
	v_mad_co_u64_u32 v[200:201], null, s8, v28, 0
	v_mad_co_u64_u32 v[205:206], null, s9, v28, v[201:202]
	s_delay_alu instid0(VALU_DEP_1) | instskip(SKIP_1) | instid1(VALU_DEP_2)
	v_dual_mov_b32 v201, v205 :: v_dual_add_nc_u32 v28, 0x253, v202
	v_mul_f64_e32 v[205:206], s[46:47], v[194:195]
	v_lshlrev_b64_e32 v[200:201], 4, v[200:201]
	s_delay_alu instid0(VALU_DEP_1) | instskip(SKIP_1) | instid1(VALU_DEP_2)
	v_add_co_u32 v200, vcc_lo, v203, v200
	s_wait_alu 0xfffd
	v_add_co_ci_u32_e32 v201, vcc_lo, v204, v201, vcc_lo
	global_store_b128 v[200:201], v[0:3], off
	v_mul_f64_e32 v[200:201], s[26:27], v[198:199]
	v_fma_f64 v[2:3], v[40:41], s[10:11], -v[205:206]
	s_delay_alu instid0(VALU_DEP_2) | instskip(NEXT) | instid1(VALU_DEP_1)
	v_fma_f64 v[0:1], v[52:53], s[12:13], -v[200:201]
	v_add_f64_e32 v[0:1], v[4:5], v[0:1]
	s_delay_alu instid0(VALU_DEP_1) | instskip(SKIP_1) | instid1(VALU_DEP_1)
	v_add_f64_e32 v[0:1], v[2:3], v[0:1]
	v_fma_f64 v[2:3], v[46:47], s[12:13], v[207:208]
	v_add_f64_e32 v[2:3], v[98:99], v[2:3]
	s_delay_alu instid0(VALU_DEP_1) | instskip(SKIP_1) | instid1(VALU_DEP_1)
	v_add_f64_e32 v[2:3], v[211:212], v[2:3]
	v_mul_f64_e32 v[211:212], s[18:19], v[188:189]
	v_fma_f64 v[213:214], v[30:31], s[4:5], -v[211:212]
	s_delay_alu instid0(VALU_DEP_1) | instskip(SKIP_1) | instid1(VALU_DEP_1)
	v_add_f64_e32 v[0:1], v[213:214], v[0:1]
	v_mul_f64_e32 v[213:214], s[18:19], v[190:191]
	v_fma_f64 v[215:216], v[26:27], s[4:5], v[213:214]
	s_delay_alu instid0(VALU_DEP_1) | instskip(SKIP_1) | instid1(VALU_DEP_1)
	v_add_f64_e32 v[2:3], v[215:216], v[2:3]
	v_mul_f64_e32 v[215:216], s[42:43], v[184:185]
	v_fma_f64 v[217:218], v[16:17], s[2:3], -v[215:216]
	s_delay_alu instid0(VALU_DEP_1) | instskip(SKIP_1) | instid1(VALU_DEP_1)
	v_add_f64_e32 v[0:1], v[217:218], v[0:1]
	v_mul_f64_e32 v[217:218], s[42:43], v[186:187]
	v_fma_f64 v[219:220], v[14:15], s[2:3], v[217:218]
	;; [unrolled: 8-line block ×5, first 2 shown]
	s_delay_alu instid0(VALU_DEP_1) | instskip(SKIP_1) | instid1(VALU_DEP_1)
	v_add_f64_e32 v[231:232], v[231:232], v[2:3]
	v_fma_f64 v[2:3], v[8:9], s[16:17], -v[233:234]
	v_add_f64_e32 v[2:3], v[2:3], v[0:1]
	v_fma_f64 v[0:1], v[6:7], s[16:17], v[235:236]
	s_delay_alu instid0(VALU_DEP_1) | instskip(SKIP_1) | instid1(VALU_DEP_1)
	v_add_f64_e32 v[0:1], v[0:1], v[231:232]
	v_mad_co_u64_u32 v[231:232], null, s8, v28, 0
	v_mad_co_u64_u32 v[237:238], null, s9, v28, v[232:233]
	v_add_nc_u32_e32 v28, 0x2ca, v202
	s_delay_alu instid0(VALU_DEP_2) | instskip(SKIP_1) | instid1(VALU_DEP_2)
	v_mov_b32_e32 v232, v237
	v_mul_f64_e32 v[237:238], s[44:45], v[194:195]
	v_lshlrev_b64_e32 v[231:232], 4, v[231:232]
	s_delay_alu instid0(VALU_DEP_1) | instskip(SKIP_1) | instid1(VALU_DEP_2)
	v_add_co_u32 v231, vcc_lo, v203, v231
	s_wait_alu 0xfffd
	v_add_co_ci_u32_e32 v232, vcc_lo, v204, v232, vcc_lo
	global_store_b128 v[231:232], v[0:3], off
	v_mul_f64_e32 v[231:232], s[28:29], v[198:199]
	v_fma_f64 v[2:3], v[40:41], s[12:13], -v[237:238]
	s_delay_alu instid0(VALU_DEP_2) | instskip(NEXT) | instid1(VALU_DEP_1)
	v_fma_f64 v[0:1], v[52:53], s[16:17], -v[231:232]
	v_add_f64_e32 v[0:1], v[4:5], v[0:1]
	s_delay_alu instid0(VALU_DEP_1) | instskip(SKIP_1) | instid1(VALU_DEP_1)
	v_add_f64_e32 v[0:1], v[2:3], v[0:1]
	v_fma_f64 v[2:3], v[46:47], s[16:17], v[239:240]
	v_add_f64_e32 v[2:3], v[98:99], v[2:3]
	s_delay_alu instid0(VALU_DEP_1) | instskip(SKIP_1) | instid1(VALU_DEP_1)
	v_add_f64_e32 v[2:3], v[243:244], v[2:3]
	v_mul_f64_e32 v[243:244], s[34:35], v[188:189]
	v_fma_f64 v[245:246], v[30:31], s[0:1], -v[243:244]
	s_delay_alu instid0(VALU_DEP_1) | instskip(SKIP_1) | instid1(VALU_DEP_1)
	v_add_f64_e32 v[0:1], v[245:246], v[0:1]
	v_mul_f64_e32 v[245:246], s[34:35], v[190:191]
	v_fma_f64 v[247:248], v[26:27], s[0:1], v[245:246]
	s_delay_alu instid0(VALU_DEP_1) | instskip(SKIP_1) | instid1(VALU_DEP_1)
	v_add_f64_e32 v[2:3], v[247:248], v[2:3]
	v_mul_f64_e32 v[247:248], s[30:31], v[184:185]
	v_fma_f64 v[249:250], v[16:17], s[10:11], -v[247:248]
	s_delay_alu instid0(VALU_DEP_1) | instskip(SKIP_1) | instid1(VALU_DEP_1)
	v_add_f64_e32 v[0:1], v[249:250], v[0:1]
	v_mul_f64_e32 v[249:250], s[30:31], v[186:187]
	v_fma_f64 v[251:252], v[14:15], s[10:11], v[249:250]
	s_delay_alu instid0(VALU_DEP_1) | instskip(SKIP_1) | instid1(VALU_DEP_1)
	v_add_f64_e32 v[2:3], v[251:252], v[2:3]
	v_mul_f64_e32 v[251:252], s[20:21], v[180:181]
	v_fma_f64 v[253:254], v[18:19], s[6:7], -v[251:252]
	s_delay_alu instid0(VALU_DEP_1) | instskip(SKIP_1) | instid1(VALU_DEP_2)
	v_add_f64_e32 v[0:1], v[253:254], v[0:1]
	v_mul_f64_e32 v[253:254], s[20:21], v[182:183]
	v_add_f64_e32 v[0:1], v[36:37], v[0:1]
	s_delay_alu instid0(VALU_DEP_2) | instskip(SKIP_2) | instid1(VALU_DEP_3)
	v_fma_f64 v[34:35], v[12:13], s[6:7], v[253:254]
	v_mul_f64_e32 v[36:37], s[22:23], v[168:169]
	v_mul_f64_e32 v[168:169], s[20:21], v[168:169]
	v_add_f64_e32 v[2:3], v[34:35], v[2:3]
	v_mul_f64_e32 v[34:35], s[22:23], v[170:171]
	v_mul_f64_e32 v[170:171], s[20:21], v[170:171]
	s_delay_alu instid0(VALU_DEP_3) | instskip(SKIP_1) | instid1(VALU_DEP_1)
	v_add_f64_e32 v[2:3], v[38:39], v[2:3]
	v_mul_f64_e32 v[38:39], s[36:37], v[172:173]
	v_fma_f64 v[42:43], v[20:21], s[14:15], -v[38:39]
	s_delay_alu instid0(VALU_DEP_1) | instskip(SKIP_1) | instid1(VALU_DEP_1)
	v_add_f64_e32 v[0:1], v[42:43], v[0:1]
	v_mul_f64_e32 v[42:43], s[36:37], v[174:175]
	v_fma_f64 v[44:45], v[10:11], s[14:15], v[42:43]
	s_delay_alu instid0(VALU_DEP_1) | instskip(SKIP_1) | instid1(VALU_DEP_1)
	v_add_f64_e32 v[44:45], v[44:45], v[2:3]
	v_fma_f64 v[2:3], v[8:9], s[2:3], -v[36:37]
	v_add_f64_e32 v[2:3], v[2:3], v[0:1]
	v_fma_f64 v[0:1], v[6:7], s[2:3], v[34:35]
	v_fma_f64 v[34:35], v[6:7], s[2:3], -v[34:35]
	s_delay_alu instid0(VALU_DEP_2) | instskip(SKIP_1) | instid1(VALU_DEP_1)
	v_add_f64_e32 v[0:1], v[0:1], v[44:45]
	v_mad_co_u64_u32 v[44:45], null, s8, v28, 0
	v_mad_co_u64_u32 v[54:55], null, s9, v28, v[45:46]
	v_mul_f64_e32 v[28:29], s[30:31], v[196:197]
	s_delay_alu instid0(VALU_DEP_2) | instskip(SKIP_1) | instid1(VALU_DEP_2)
	v_mov_b32_e32 v45, v54
	v_mul_f64_e32 v[54:55], s[22:23], v[194:195]
	v_lshlrev_b64_e32 v[44:45], 4, v[44:45]
	s_delay_alu instid0(VALU_DEP_1) | instskip(SKIP_1) | instid1(VALU_DEP_2)
	v_add_co_u32 v44, vcc_lo, v203, v44
	s_wait_alu 0xfffd
	v_add_co_ci_u32_e32 v45, vcc_lo, v204, v45, vcc_lo
	global_store_b128 v[44:45], v[0:3], off
	v_mul_f64_e32 v[44:45], s[30:31], v[198:199]
	v_fma_f64 v[2:3], v[40:41], s[2:3], -v[54:55]
	s_delay_alu instid0(VALU_DEP_2) | instskip(NEXT) | instid1(VALU_DEP_1)
	v_fma_f64 v[0:1], v[52:53], s[10:11], -v[44:45]
	v_add_f64_e32 v[0:1], v[4:5], v[0:1]
	s_delay_alu instid0(VALU_DEP_1) | instskip(SKIP_1) | instid1(VALU_DEP_1)
	v_add_f64_e32 v[0:1], v[2:3], v[0:1]
	v_fma_f64 v[2:3], v[46:47], s[10:11], v[28:29]
	v_add_f64_e32 v[2:3], v[98:99], v[2:3]
	s_delay_alu instid0(VALU_DEP_1) | instskip(SKIP_2) | instid1(VALU_DEP_2)
	v_add_f64_e32 v[2:3], v[60:61], v[2:3]
	v_mul_f64_e32 v[60:61], s[38:39], v[188:189]
	v_mul_f64_e32 v[188:189], s[30:31], v[188:189]
	v_fma_f64 v[62:63], v[30:31], s[6:7], -v[60:61]
	s_delay_alu instid0(VALU_DEP_1) | instskip(SKIP_2) | instid1(VALU_DEP_2)
	v_add_f64_e32 v[0:1], v[62:63], v[0:1]
	v_mul_f64_e32 v[62:63], s[38:39], v[190:191]
	v_mul_f64_e32 v[190:191], s[30:31], v[190:191]
	v_fma_f64 v[64:65], v[26:27], s[6:7], v[62:63]
	s_delay_alu instid0(VALU_DEP_1) | instskip(SKIP_2) | instid1(VALU_DEP_2)
	v_add_f64_e32 v[2:3], v[64:65], v[2:3]
	v_mul_f64_e32 v[64:65], s[48:49], v[184:185]
	v_mul_f64_e32 v[184:185], s[18:19], v[184:185]
	v_fma_f64 v[66:67], v[16:17], s[16:17], -v[64:65]
	s_delay_alu instid0(VALU_DEP_1) | instskip(SKIP_2) | instid1(VALU_DEP_2)
	v_add_f64_e32 v[0:1], v[66:67], v[0:1]
	v_mul_f64_e32 v[66:67], s[48:49], v[186:187]
	v_mul_f64_e32 v[186:187], s[18:19], v[186:187]
	v_fma_f64 v[68:69], v[14:15], s[16:17], v[66:67]
	;; [unrolled: 10-line block ×5, first 2 shown]
	s_delay_alu instid0(VALU_DEP_1) | instskip(SKIP_1) | instid1(VALU_DEP_1)
	v_add_f64_e32 v[80:81], v[80:81], v[2:3]
	v_fma_f64 v[2:3], v[8:9], s[12:13], -v[94:95]
	v_add_f64_e32 v[2:3], v[2:3], v[0:1]
	v_fma_f64 v[0:1], v[6:7], s[12:13], v[96:97]
	s_delay_alu instid0(VALU_DEP_1) | instskip(SKIP_1) | instid1(VALU_DEP_1)
	v_add_f64_e32 v[0:1], v[0:1], v[80:81]
	v_mad_co_u64_u32 v[80:81], null, s8, v86, 0
	v_mad_co_u64_u32 v[86:87], null, s9, v86, v[81:82]
	s_delay_alu instid0(VALU_DEP_1) | instskip(SKIP_3) | instid1(VALU_DEP_4)
	v_mov_b32_e32 v81, v86
	v_mul_f64_e32 v[86:87], s[24:25], v[194:195]
	v_mul_f64_e32 v[194:195], s[36:37], v[196:197]
	v_fma_f64 v[196:197], v[32:33], s[0:1], v[192:193]
	v_lshlrev_b64_e32 v[80:81], 4, v[80:81]
	s_delay_alu instid0(VALU_DEP_1) | instskip(SKIP_1) | instid1(VALU_DEP_2)
	v_add_co_u32 v80, vcc_lo, v203, v80
	s_wait_alu 0xfffd
	v_add_co_ci_u32_e32 v81, vcc_lo, v204, v81, vcc_lo
	global_store_b128 v[80:81], v[0:3], off
	v_mul_f64_e32 v[80:81], s[36:37], v[198:199]
	v_add_nc_u32_e32 v198, 0x3b8, v202
	v_fma_f64 v[2:3], v[40:41], s[0:1], -v[86:87]
	s_delay_alu instid0(VALU_DEP_3) | instskip(NEXT) | instid1(VALU_DEP_1)
	v_fma_f64 v[0:1], v[52:53], s[14:15], -v[80:81]
	v_add_f64_e32 v[0:1], v[4:5], v[0:1]
	s_delay_alu instid0(VALU_DEP_1) | instskip(SKIP_1) | instid1(VALU_DEP_1)
	v_add_f64_e32 v[0:1], v[2:3], v[0:1]
	v_fma_f64 v[2:3], v[46:47], s[14:15], v[194:195]
	v_add_f64_e32 v[2:3], v[98:99], v[2:3]
	s_delay_alu instid0(VALU_DEP_1) | instskip(SKIP_1) | instid1(VALU_DEP_1)
	v_add_f64_e32 v[2:3], v[196:197], v[2:3]
	v_fma_f64 v[196:197], v[30:31], s[10:11], -v[188:189]
	v_add_f64_e32 v[0:1], v[196:197], v[0:1]
	v_fma_f64 v[196:197], v[26:27], s[10:11], v[190:191]
	s_delay_alu instid0(VALU_DEP_1) | instskip(SKIP_1) | instid1(VALU_DEP_1)
	v_add_f64_e32 v[2:3], v[196:197], v[2:3]
	v_fma_f64 v[196:197], v[16:17], s[4:5], -v[184:185]
	v_add_f64_e32 v[0:1], v[196:197], v[0:1]
	v_fma_f64 v[196:197], v[14:15], s[4:5], v[186:187]
	s_delay_alu instid0(VALU_DEP_1) | instskip(SKIP_1) | instid1(VALU_DEP_1)
	v_add_f64_e32 v[2:3], v[196:197], v[2:3]
	v_fma_f64 v[196:197], v[18:19], s[16:17], -v[180:181]
	v_add_f64_e32 v[0:1], v[196:197], v[0:1]
	v_fma_f64 v[196:197], v[12:13], s[16:17], v[182:183]
	s_delay_alu instid0(VALU_DEP_1) | instskip(SKIP_1) | instid1(VALU_DEP_1)
	v_add_f64_e32 v[2:3], v[196:197], v[2:3]
	v_fma_f64 v[196:197], v[24:25], s[2:3], -v[176:177]
	v_add_f64_e32 v[0:1], v[196:197], v[0:1]
	v_fma_f64 v[196:197], v[22:23], s[2:3], v[178:179]
	s_delay_alu instid0(VALU_DEP_1) | instskip(SKIP_1) | instid1(VALU_DEP_1)
	v_add_f64_e32 v[2:3], v[196:197], v[2:3]
	v_fma_f64 v[196:197], v[20:21], s[12:13], -v[172:173]
	v_add_f64_e32 v[0:1], v[196:197], v[0:1]
	v_fma_f64 v[196:197], v[10:11], s[12:13], v[174:175]
	s_delay_alu instid0(VALU_DEP_1) | instskip(SKIP_1) | instid1(VALU_DEP_1)
	v_add_f64_e32 v[196:197], v[196:197], v[2:3]
	v_fma_f64 v[2:3], v[8:9], s[6:7], -v[168:169]
	v_add_f64_e32 v[2:3], v[2:3], v[0:1]
	v_fma_f64 v[0:1], v[6:7], s[6:7], v[170:171]
	s_delay_alu instid0(VALU_DEP_1) | instskip(SKIP_1) | instid1(VALU_DEP_1)
	v_add_f64_e32 v[0:1], v[0:1], v[196:197]
	v_mad_co_u64_u32 v[196:197], null, s8, v198, 0
	v_mad_co_u64_u32 v[197:198], null, s9, v198, v[197:198]
	s_delay_alu instid0(VALU_DEP_1) | instskip(NEXT) | instid1(VALU_DEP_1)
	v_lshlrev_b64_e32 v[196:197], 4, v[196:197]
	v_add_co_u32 v196, vcc_lo, v203, v196
	s_wait_alu 0xfffd
	s_delay_alu instid0(VALU_DEP_2)
	v_add_co_ci_u32_e32 v197, vcc_lo, v204, v197, vcc_lo
	global_store_b128 v[196:197], v[0:3], off
	v_fma_f64 v[0:1], v[52:53], s[14:15], v[80:81]
	v_fma_f64 v[2:3], v[40:41], s[0:1], v[86:87]
	v_fma_f64 v[80:81], v[32:33], s[0:1], -v[192:193]
	v_fma_f64 v[86:87], v[6:7], s[6:7], -v[170:171]
	s_delay_alu instid0(VALU_DEP_4) | instskip(NEXT) | instid1(VALU_DEP_1)
	v_add_f64_e32 v[0:1], v[4:5], v[0:1]
	v_add_f64_e32 v[0:1], v[2:3], v[0:1]
	v_fma_f64 v[2:3], v[46:47], s[14:15], -v[194:195]
	s_delay_alu instid0(VALU_DEP_1) | instskip(NEXT) | instid1(VALU_DEP_1)
	v_add_f64_e32 v[2:3], v[98:99], v[2:3]
	v_add_f64_e32 v[2:3], v[80:81], v[2:3]
	v_fma_f64 v[80:81], v[30:31], s[10:11], v[188:189]
	s_delay_alu instid0(VALU_DEP_1) | instskip(SKIP_1) | instid1(VALU_DEP_1)
	v_add_f64_e32 v[0:1], v[80:81], v[0:1]
	v_fma_f64 v[80:81], v[26:27], s[10:11], -v[190:191]
	v_add_f64_e32 v[2:3], v[80:81], v[2:3]
	v_fma_f64 v[80:81], v[16:17], s[4:5], v[184:185]
	s_delay_alu instid0(VALU_DEP_1) | instskip(SKIP_1) | instid1(VALU_DEP_1)
	v_add_f64_e32 v[0:1], v[80:81], v[0:1]
	v_fma_f64 v[80:81], v[14:15], s[4:5], -v[186:187]
	;; [unrolled: 5-line block ×5, first 2 shown]
	v_add_f64_e32 v[80:81], v[80:81], v[2:3]
	v_fma_f64 v[2:3], v[8:9], s[6:7], v[168:169]
	s_delay_alu instid0(VALU_DEP_1) | instskip(NEXT) | instid1(VALU_DEP_3)
	v_add_f64_e32 v[2:3], v[2:3], v[0:1]
	v_add_f64_e32 v[0:1], v[86:87], v[80:81]
	v_add_nc_u32_e32 v86, 0x42f, v202
	s_delay_alu instid0(VALU_DEP_1) | instskip(NEXT) | instid1(VALU_DEP_1)
	v_mad_co_u64_u32 v[80:81], null, s8, v86, 0
	v_mad_co_u64_u32 v[86:87], null, s9, v86, v[81:82]
	s_delay_alu instid0(VALU_DEP_1) | instskip(NEXT) | instid1(VALU_DEP_1)
	v_mov_b32_e32 v81, v86
	v_lshlrev_b64_e32 v[80:81], 4, v[80:81]
	s_delay_alu instid0(VALU_DEP_1) | instskip(SKIP_1) | instid1(VALU_DEP_2)
	v_add_co_u32 v80, vcc_lo, v203, v80
	s_wait_alu 0xfffd
	v_add_co_ci_u32_e32 v81, vcc_lo, v204, v81, vcc_lo
	global_store_b128 v[80:81], v[0:3], off
	v_fma_f64 v[0:1], v[52:53], s[10:11], v[44:45]
	v_fma_f64 v[2:3], v[40:41], s[2:3], v[54:55]
	v_fma_f64 v[44:45], v[6:7], s[12:13], -v[96:97]
	s_delay_alu instid0(VALU_DEP_3) | instskip(NEXT) | instid1(VALU_DEP_1)
	v_add_f64_e32 v[0:1], v[4:5], v[0:1]
	v_add_f64_e32 v[0:1], v[2:3], v[0:1]
	v_fma_f64 v[2:3], v[46:47], s[10:11], -v[28:29]
	v_fma_f64 v[28:29], v[32:33], s[2:3], -v[92:93]
	s_delay_alu instid0(VALU_DEP_2) | instskip(NEXT) | instid1(VALU_DEP_1)
	v_add_f64_e32 v[2:3], v[98:99], v[2:3]
	v_add_f64_e32 v[2:3], v[28:29], v[2:3]
	v_fma_f64 v[28:29], v[30:31], s[6:7], v[60:61]
	s_delay_alu instid0(VALU_DEP_1) | instskip(SKIP_1) | instid1(VALU_DEP_1)
	v_add_f64_e32 v[0:1], v[28:29], v[0:1]
	v_fma_f64 v[28:29], v[26:27], s[6:7], -v[62:63]
	v_add_f64_e32 v[2:3], v[28:29], v[2:3]
	v_fma_f64 v[28:29], v[16:17], s[16:17], v[64:65]
	s_delay_alu instid0(VALU_DEP_1) | instskip(SKIP_1) | instid1(VALU_DEP_1)
	v_add_f64_e32 v[0:1], v[28:29], v[0:1]
	v_fma_f64 v[28:29], v[14:15], s[16:17], -v[66:67]
	;; [unrolled: 5-line block ×5, first 2 shown]
	v_add_f64_e32 v[28:29], v[28:29], v[2:3]
	v_fma_f64 v[2:3], v[8:9], s[12:13], v[94:95]
	s_delay_alu instid0(VALU_DEP_1) | instskip(NEXT) | instid1(VALU_DEP_3)
	v_add_f64_e32 v[2:3], v[2:3], v[0:1]
	v_add_f64_e32 v[0:1], v[44:45], v[28:29]
	v_add_nc_u32_e32 v44, 0x4a6, v202
	s_delay_alu instid0(VALU_DEP_1) | instskip(NEXT) | instid1(VALU_DEP_1)
	v_mad_co_u64_u32 v[28:29], null, s8, v44, 0
	v_mad_co_u64_u32 v[44:45], null, s9, v44, v[29:30]
	s_delay_alu instid0(VALU_DEP_1) | instskip(SKIP_4) | instid1(VALU_DEP_1)
	v_mov_b32_e32 v29, v44
	s_clause 0x1
	scratch_load_b64 v[44:45], off, off offset:120 th:TH_LOAD_LU
	scratch_load_b64 v[54:55], off, off offset:104 th:TH_LOAD_LU
	v_lshlrev_b64_e32 v[28:29], 4, v[28:29]
	v_add_co_u32 v28, vcc_lo, v203, v28
	s_wait_alu 0xfffd
	s_delay_alu instid0(VALU_DEP_2) | instskip(SKIP_4) | instid1(VALU_DEP_3)
	v_add_co_ci_u32_e32 v29, vcc_lo, v204, v29, vcc_lo
	global_store_b128 v[28:29], v[0:3], off
	v_fma_f64 v[0:1], v[52:53], s[16:17], v[231:232]
	v_fma_f64 v[2:3], v[40:41], s[12:13], v[237:238]
	v_fma_f64 v[28:29], v[32:33], s[12:13], -v[241:242]
	v_add_f64_e32 v[0:1], v[4:5], v[0:1]
	s_delay_alu instid0(VALU_DEP_1) | instskip(SKIP_1) | instid1(VALU_DEP_1)
	v_add_f64_e32 v[0:1], v[2:3], v[0:1]
	v_fma_f64 v[2:3], v[46:47], s[16:17], -v[239:240]
	v_add_f64_e32 v[2:3], v[98:99], v[2:3]
	s_delay_alu instid0(VALU_DEP_1) | instskip(SKIP_1) | instid1(VALU_DEP_1)
	v_add_f64_e32 v[2:3], v[28:29], v[2:3]
	v_fma_f64 v[28:29], v[30:31], s[0:1], v[243:244]
	v_add_f64_e32 v[0:1], v[28:29], v[0:1]
	v_fma_f64 v[28:29], v[26:27], s[0:1], -v[245:246]
	s_delay_alu instid0(VALU_DEP_1) | instskip(SKIP_1) | instid1(VALU_DEP_1)
	v_add_f64_e32 v[2:3], v[28:29], v[2:3]
	v_fma_f64 v[28:29], v[16:17], s[10:11], v[247:248]
	v_add_f64_e32 v[0:1], v[28:29], v[0:1]
	v_fma_f64 v[28:29], v[14:15], s[10:11], -v[249:250]
	s_wait_loadcnt 0x1
	v_fma_f64 v[44:45], v[46:47], s[0:1], -v[44:45]
	s_delay_alu instid0(VALU_DEP_2) | instskip(SKIP_1) | instid1(VALU_DEP_1)
	v_add_f64_e32 v[2:3], v[28:29], v[2:3]
	v_fma_f64 v[28:29], v[18:19], s[6:7], v[251:252]
	v_add_f64_e32 v[0:1], v[28:29], v[0:1]
	v_fma_f64 v[28:29], v[12:13], s[6:7], -v[253:254]
	s_delay_alu instid0(VALU_DEP_1)
	v_add_f64_e32 v[2:3], v[28:29], v[2:3]
	v_fma_f64 v[28:29], v[24:25], s[4:5], v[50:51]
	scratch_load_b64 v[50:51], off, off offset:96 th:TH_LOAD_LU ; 8-byte Folded Reload
	v_add_f64_e32 v[0:1], v[28:29], v[0:1]
	v_fma_f64 v[28:29], v[22:23], s[4:5], -v[48:49]
	v_fma_f64 v[48:49], v[40:41], s[6:7], v[58:59]
	s_delay_alu instid0(VALU_DEP_2) | instskip(SKIP_2) | instid1(VALU_DEP_2)
	v_add_f64_e32 v[2:3], v[28:29], v[2:3]
	v_fma_f64 v[28:29], v[20:21], s[14:15], v[38:39]
	v_fma_f64 v[38:39], v[6:7], s[4:5], -v[166:167]
	v_add_f64_e32 v[0:1], v[28:29], v[0:1]
	v_fma_f64 v[28:29], v[10:11], s[14:15], -v[42:43]
	v_fma_f64 v[42:43], v[46:47], s[4:5], -v[100:101]
	s_delay_alu instid0(VALU_DEP_2) | instskip(SKIP_2) | instid1(VALU_DEP_2)
	v_add_f64_e32 v[28:29], v[28:29], v[2:3]
	v_fma_f64 v[2:3], v[8:9], s[2:3], v[36:37]
	v_fma_f64 v[36:37], v[32:33], s[14:15], -v[144:145]
	v_add_f64_e32 v[2:3], v[2:3], v[0:1]
	s_delay_alu instid0(VALU_DEP_4) | instskip(SKIP_1) | instid1(VALU_DEP_1)
	v_add_f64_e32 v[0:1], v[34:35], v[28:29]
	v_add_nc_u32_e32 v34, 0x51d, v202
	v_mad_co_u64_u32 v[28:29], null, s8, v34, 0
	s_delay_alu instid0(VALU_DEP_1) | instskip(NEXT) | instid1(VALU_DEP_1)
	v_mad_co_u64_u32 v[34:35], null, s9, v34, v[29:30]
	v_mov_b32_e32 v29, v34
	v_fma_f64 v[34:35], v[6:7], s[16:17], -v[235:236]
	s_delay_alu instid0(VALU_DEP_2) | instskip(NEXT) | instid1(VALU_DEP_1)
	v_lshlrev_b64_e32 v[28:29], 4, v[28:29]
	v_add_co_u32 v28, vcc_lo, v203, v28
	s_wait_alu 0xfffd
	s_delay_alu instid0(VALU_DEP_2) | instskip(SKIP_4) | instid1(VALU_DEP_3)
	v_add_co_ci_u32_e32 v29, vcc_lo, v204, v29, vcc_lo
	global_store_b128 v[28:29], v[0:3], off
	v_fma_f64 v[0:1], v[52:53], s[12:13], v[200:201]
	v_fma_f64 v[2:3], v[40:41], s[10:11], v[205:206]
	v_fma_f64 v[28:29], v[32:33], s[10:11], -v[209:210]
	v_add_f64_e32 v[0:1], v[4:5], v[0:1]
	s_delay_alu instid0(VALU_DEP_1) | instskip(SKIP_1) | instid1(VALU_DEP_1)
	v_add_f64_e32 v[0:1], v[2:3], v[0:1]
	v_fma_f64 v[2:3], v[46:47], s[12:13], -v[207:208]
	v_add_f64_e32 v[2:3], v[98:99], v[2:3]
	s_delay_alu instid0(VALU_DEP_1) | instskip(SKIP_1) | instid1(VALU_DEP_1)
	v_add_f64_e32 v[2:3], v[28:29], v[2:3]
	v_fma_f64 v[28:29], v[30:31], s[4:5], v[211:212]
	v_add_f64_e32 v[0:1], v[28:29], v[0:1]
	v_fma_f64 v[28:29], v[26:27], s[4:5], -v[213:214]
	s_delay_alu instid0(VALU_DEP_1) | instskip(SKIP_1) | instid1(VALU_DEP_1)
	v_add_f64_e32 v[2:3], v[28:29], v[2:3]
	v_fma_f64 v[28:29], v[16:17], s[2:3], v[215:216]
	v_add_f64_e32 v[0:1], v[28:29], v[0:1]
	v_fma_f64 v[28:29], v[14:15], s[2:3], -v[217:218]
	;; [unrolled: 5-line block ×5, first 2 shown]
	s_delay_alu instid0(VALU_DEP_1) | instskip(SKIP_1) | instid1(VALU_DEP_1)
	v_add_f64_e32 v[28:29], v[28:29], v[2:3]
	v_fma_f64 v[2:3], v[8:9], s[16:17], v[233:234]
	v_add_f64_e32 v[2:3], v[2:3], v[0:1]
	s_delay_alu instid0(VALU_DEP_3) | instskip(SKIP_2) | instid1(VALU_DEP_2)
	v_add_f64_e32 v[0:1], v[34:35], v[28:29]
	v_fma_f64 v[28:29], v[52:53], s[6:7], v[136:137]
	v_fma_f64 v[34:35], v[40:41], s[14:15], v[138:139]
	v_add_f64_e32 v[28:29], v[4:5], v[28:29]
	s_delay_alu instid0(VALU_DEP_1) | instskip(SKIP_1) | instid1(VALU_DEP_1)
	v_add_f64_e32 v[28:29], v[34:35], v[28:29]
	v_fma_f64 v[34:35], v[46:47], s[6:7], -v[140:141]
	v_add_f64_e32 v[34:35], v[98:99], v[34:35]
	s_delay_alu instid0(VALU_DEP_1) | instskip(SKIP_1) | instid1(VALU_DEP_1)
	v_add_f64_e32 v[34:35], v[36:37], v[34:35]
	v_fma_f64 v[36:37], v[30:31], s[12:13], v[142:143]
	v_add_f64_e32 v[28:29], v[36:37], v[28:29]
	v_fma_f64 v[36:37], v[26:27], s[12:13], -v[146:147]
	s_delay_alu instid0(VALU_DEP_1) | instskip(SKIP_1) | instid1(VALU_DEP_1)
	v_add_f64_e32 v[34:35], v[36:37], v[34:35]
	v_fma_f64 v[36:37], v[16:17], s[0:1], v[148:149]
	v_add_f64_e32 v[28:29], v[36:37], v[28:29]
	v_fma_f64 v[36:37], v[14:15], s[0:1], -v[150:151]
	;; [unrolled: 5-line block ×5, first 2 shown]
	s_delay_alu instid0(VALU_DEP_1) | instskip(SKIP_1) | instid1(VALU_DEP_2)
	v_add_f64_e32 v[34:35], v[36:37], v[34:35]
	v_fma_f64 v[36:37], v[8:9], s[4:5], v[164:165]
	v_add_f64_e32 v[136:137], v[38:39], v[34:35]
	s_delay_alu instid0(VALU_DEP_2)
	v_add_f64_e32 v[138:139], v[36:37], v[28:29]
	scratch_load_b64 v[36:37], off, off offset:112 th:TH_LOAD_LU ; 8-byte Folded Reload
	v_fma_f64 v[28:29], v[52:53], s[2:3], v[134:135]
	v_fma_f64 v[34:35], v[52:53], s[4:5], v[102:103]
	v_fma_f64 v[38:39], v[46:47], s[2:3], -v[132:133]
	v_fma_f64 v[46:47], v[40:41], s[16:17], v[128:129]
	s_wait_loadcnt 0x1
	v_fma_f64 v[40:41], v[40:41], s[4:5], v[50:51]
	v_fma_f64 v[50:51], v[32:33], s[16:17], -v[130:131]
	v_add_f64_e32 v[28:29], v[4:5], v[28:29]
	v_add_f64_e32 v[34:35], v[4:5], v[34:35]
	s_delay_alu instid0(VALU_DEP_2) | instskip(NEXT) | instid1(VALU_DEP_2)
	v_add_f64_e32 v[28:29], v[46:47], v[28:29]
	v_add_f64_e32 v[34:35], v[48:49], v[34:35]
	v_fma_f64 v[46:47], v[26:27], s[16:17], -v[84:85]
	scratch_load_b64 v[48:49], off, off offset:72 th:TH_LOAD_LU ; 8-byte Folded Reload
	s_wait_loadcnt 0x1
	v_fma_f64 v[36:37], v[52:53], s[0:1], v[36:37]
	v_fma_f64 v[52:53], v[32:33], s[6:7], -v[56:57]
	scratch_load_b64 v[56:57], off, off offset:88 th:TH_LOAD_LU ; 8-byte Folded Reload
	v_fma_f64 v[32:33], v[32:33], s[4:5], -v[54:55]
	v_fma_f64 v[54:55], v[30:31], s[16:17], v[82:83]
	v_add_f64_e32 v[4:5], v[4:5], v[36:37]
	v_add_f64_e32 v[36:37], v[98:99], v[38:39]
	;; [unrolled: 1-line block ×4, first 2 shown]
	v_fma_f64 v[44:45], v[30:31], s[14:15], v[126:127]
	v_add_f64_e32 v[34:35], v[54:55], v[34:35]
	v_add_f64_e32 v[4:5], v[40:41], v[4:5]
	;; [unrolled: 1-line block ×3, first 2 shown]
	scratch_load_b64 v[50:51], off, off offset:80 th:TH_LOAD_LU ; 8-byte Folded Reload
	v_fma_f64 v[40:41], v[26:27], s[14:15], -v[124:125]
	v_add_f64_e32 v[38:39], v[52:53], v[38:39]
	v_add_f64_e32 v[28:29], v[44:45], v[28:29]
	scratch_load_b64 v[44:45], off, off offset:56 th:TH_LOAD_LU ; 8-byte Folded Reload
	v_add_f64_e32 v[32:33], v[32:33], v[42:43]
	v_fma_f64 v[42:43], v[16:17], s[12:13], v[122:123]
	v_add_f64_e32 v[36:37], v[40:41], v[36:37]
	scratch_load_b64 v[40:41], off, off offset:184 th:TH_LOAD_LU ; 8-byte Folded Reload
	v_add_f64_e32 v[38:39], v[46:47], v[38:39]
	scratch_load_b64 v[46:47], off, off offset:64 th:TH_LOAD_LU ; 8-byte Folded Reload
	s_wait_loadcnt 0x5
	v_fma_f64 v[26:27], v[26:27], s[2:3], -v[48:49]
	v_fma_f64 v[48:49], v[16:17], s[14:15], v[90:91]
	v_add_f64_e32 v[28:29], v[42:43], v[28:29]
	scratch_load_b64 v[42:43], off, off offset:48 th:TH_LOAD_LU ; 8-byte Folded Reload
	v_add_f64_e32 v[26:27], v[26:27], v[32:33]
	v_add_f64_e32 v[34:35], v[48:49], v[34:35]
	v_fma_f64 v[32:33], v[18:19], s[4:5], v[118:119]
	s_delay_alu instid0(VALU_DEP_1) | instskip(SKIP_2) | instid1(VALU_DEP_1)
	v_add_f64_e32 v[28:29], v[32:33], v[28:29]
	s_wait_loadcnt 0x5
	v_fma_f64 v[30:31], v[30:31], s[2:3], v[56:57]
	v_add_f64_e32 v[4:5], v[30:31], v[4:5]
	v_fma_f64 v[30:31], v[14:15], s[12:13], -v[120:121]
	s_wait_loadcnt 0x4
	v_fma_f64 v[16:17], v[16:17], s[6:7], v[50:51]
	s_delay_alu instid0(VALU_DEP_2) | instskip(NEXT) | instid1(VALU_DEP_2)
	v_add_f64_e32 v[30:31], v[30:31], v[36:37]
	v_add_f64_e32 v[4:5], v[16:17], v[4:5]
	v_fma_f64 v[16:17], v[12:13], s[4:5], -v[116:117]
	s_wait_loadcnt 0x2
	v_fma_f64 v[40:41], v[14:15], s[14:15], -v[40:41]
	v_fma_f64 v[14:15], v[14:15], s[6:7], -v[44:45]
	v_fma_f64 v[44:45], v[18:19], s[10:11], v[88:89]
	s_wait_loadcnt 0x1
	v_fma_f64 v[18:19], v[18:19], s[12:13], v[46:47]
	v_add_f64_e32 v[16:17], v[16:17], v[30:31]
	v_add_f64_e32 v[36:37], v[40:41], v[38:39]
	s_clause 0x1
	scratch_load_b64 v[38:39], off, off offset:168 th:TH_LOAD_LU
	scratch_load_b64 v[40:41], off, off offset:40 th:TH_LOAD_LU
	v_add_f64_e32 v[30:31], v[44:45], v[34:35]
	scratch_load_b64 v[34:35], off, off offset:160 th:TH_LOAD_LU ; 8-byte Folded Reload
	v_add_f64_e32 v[14:15], v[14:15], v[26:27]
	v_fma_f64 v[26:27], v[24:25], s[0:1], v[114:115]
	v_add_f64_e32 v[4:5], v[18:19], v[4:5]
	v_fma_f64 v[18:19], v[22:23], s[0:1], -v[112:113]
	s_delay_alu instid0(VALU_DEP_3) | instskip(NEXT) | instid1(VALU_DEP_2)
	v_add_f64_e32 v[26:27], v[26:27], v[28:29]
	v_add_f64_e32 v[16:17], v[18:19], v[16:17]
	s_wait_loadcnt 0x2
	v_fma_f64 v[38:39], v[12:13], s[10:11], -v[38:39]
	s_wait_loadcnt 0x0
	v_fma_f64 v[34:35], v[22:23], s[12:13], -v[34:35]
	s_delay_alu instid0(VALU_DEP_2)
	v_add_f64_e32 v[32:33], v[38:39], v[36:37]
	s_clause 0x1
	scratch_load_b64 v[36:37], off, off offset:24 th:TH_LOAD_LU
	scratch_load_b64 v[38:39], off, off offset:32 th:TH_LOAD_LU
	v_fma_f64 v[12:13], v[12:13], s[12:13], -v[40:41]
	scratch_load_b64 v[40:41], off, off offset:176 th:TH_LOAD_LU ; 8-byte Folded Reload
	v_add_f64_e32 v[28:29], v[34:35], v[32:33]
	s_clause 0x1
	scratch_load_b64 v[32:33], off, off offset:8 th:TH_LOAD_LU
	scratch_load_b64 v[34:35], off, off offset:16 th:TH_LOAD_LU
	v_add_f64_e32 v[12:13], v[12:13], v[14:15]
	v_fma_f64 v[14:15], v[20:21], s[6:7], v[110:111]
	s_wait_loadcnt 0x4
	v_fma_f64 v[22:23], v[22:23], s[16:17], -v[36:37]
	scratch_load_b64 v[36:37], off, off offset:152 th:TH_LOAD_LU ; 8-byte Folded Reload
	s_wait_loadcnt 0x3
	v_fma_f64 v[40:41], v[24:25], s[12:13], v[40:41]
	v_fma_f64 v[24:25], v[24:25], s[16:17], v[42:43]
	v_add_nc_u32_e32 v42, 0x594, v202
	v_add_nc_u32_e32 v43, 0x770, v202
	v_add_f64_e32 v[12:13], v[22:23], v[12:13]
	v_fma_f64 v[22:23], v[8:9], s[10:11], v[104:105]
	s_wait_loadcnt 0x1
	v_fma_f64 v[34:35], v[8:9], s[14:15], v[34:35]
	v_add_f64_e32 v[18:19], v[40:41], v[30:31]
	scratch_load_b64 v[30:31], off, off offset:144 th:TH_LOAD_LU ; 8-byte Folded Reload
	v_add_f64_e32 v[4:5], v[24:25], v[4:5]
	v_fma_f64 v[24:25], v[10:11], s[6:7], -v[108:109]
	scratch_load_b64 v[40:41], off, off th:TH_LOAD_LU ; 8-byte Folded Reload
	s_wait_loadcnt 0x2
	v_fma_f64 v[36:37], v[20:21], s[2:3], v[36:37]
	v_fma_f64 v[20:21], v[20:21], s[10:11], v[38:39]
	scratch_load_b64 v[38:39], off, off offset:136 th:TH_LOAD_LU ; 8-byte Folded Reload
	v_add_f64_e32 v[20:21], v[20:21], v[4:5]
	s_wait_loadcnt 0x2
	v_fma_f64 v[30:31], v[10:11], s[2:3], -v[30:31]
	v_fma_f64 v[10:11], v[10:11], s[10:11], -v[32:33]
	scratch_load_b64 v[32:33], off, off offset:128 th:TH_LOAD_LU ; 8-byte Folded Reload
	s_wait_loadcnt 0x2
	v_fma_f64 v[40:41], v[6:7], s[14:15], -v[40:41]
	v_add_f64_e32 v[12:13], v[10:11], v[12:13]
	v_add_nc_u32_e32 v11, 0x682, v202
	s_delay_alu instid0(VALU_DEP_2)
	v_add_f64_e32 v[12:13], v[40:41], v[12:13]
	s_wait_loadcnt 0x1
	v_fma_f64 v[38:39], v[6:7], s[0:1], -v[38:39]
	s_wait_loadcnt 0x0
	v_fma_f64 v[32:33], v[8:9], s[0:1], v[32:33]
	v_fma_f64 v[8:9], v[6:7], s[10:11], -v[106:107]
	v_add_f64_e32 v[6:7], v[14:15], v[26:27]
	v_add_f64_e32 v[14:15], v[24:25], v[16:17]
	;; [unrolled: 1-line block ×4, first 2 shown]
	v_mad_co_u64_u32 v[18:19], null, s8, v42, 0
	v_add_nc_u32_e32 v28, 0x60b, v202
	v_mad_co_u64_u32 v[36:37], null, s8, v43, 0
	s_delay_alu instid0(VALU_DEP_2) | instskip(NEXT) | instid1(VALU_DEP_4)
	v_mad_co_u64_u32 v[26:27], null, s8, v28, 0
	v_mov_b32_e32 v4, v19
	s_delay_alu instid0(VALU_DEP_1) | instskip(NEXT) | instid1(VALU_DEP_3)
	v_mad_co_u64_u32 v[4:5], null, s9, v42, v[4:5]
	v_dual_mov_b32 v5, v27 :: v_dual_add_nc_u32 v42, 0x6f9, v202
	s_delay_alu instid0(VALU_DEP_2) | instskip(NEXT) | instid1(VALU_DEP_2)
	v_mov_b32_e32 v19, v4
	v_mad_co_u64_u32 v[30:31], null, s8, v42, 0
	s_delay_alu instid0(VALU_DEP_2) | instskip(NEXT) | instid1(VALU_DEP_4)
	v_lshlrev_b64_e32 v[18:19], 4, v[18:19]
	v_mad_co_u64_u32 v[4:5], null, s9, v28, v[5:6]
	v_mad_co_u64_u32 v[28:29], null, s8, v11, 0
	v_add_f64_e32 v[6:7], v[22:23], v[6:7]
	s_delay_alu instid0(VALU_DEP_3) | instskip(SKIP_1) | instid1(VALU_DEP_4)
	v_mov_b32_e32 v27, v4
	v_add_f64_e32 v[4:5], v[8:9], v[14:15]
	v_mov_b32_e32 v10, v29
	v_add_f64_e32 v[8:9], v[38:39], v[24:25]
	v_add_f64_e32 v[14:15], v[34:35], v[20:21]
	v_lshlrev_b64_e32 v[20:21], 4, v[26:27]
	s_delay_alu instid0(VALU_DEP_4) | instskip(SKIP_2) | instid1(VALU_DEP_3)
	v_mad_co_u64_u32 v[22:23], null, s9, v11, v[10:11]
	v_add_f64_e32 v[10:11], v[32:33], v[16:17]
	v_dual_mov_b32 v16, v31 :: v_dual_mov_b32 v17, v37
	v_mov_b32_e32 v29, v22
	s_delay_alu instid0(VALU_DEP_2) | instskip(SKIP_4) | instid1(VALU_DEP_4)
	v_mad_co_u64_u32 v[22:23], null, s9, v42, v[16:17]
	v_mad_co_u64_u32 v[16:17], null, s9, v43, v[17:18]
	v_add_co_u32 v17, vcc_lo, v203, v18
	s_wait_alu 0xfffd
	v_add_co_ci_u32_e32 v18, vcc_lo, v204, v19, vcc_lo
	v_mov_b32_e32 v31, v22
	v_lshlrev_b64_e32 v[23:24], 4, v[28:29]
	v_add_co_u32 v19, vcc_lo, v203, v20
	v_mov_b32_e32 v37, v16
	s_wait_alu 0xfffd
	v_add_co_ci_u32_e32 v20, vcc_lo, v204, v21, vcc_lo
	v_lshlrev_b64_e32 v[21:22], 4, v[30:31]
	v_add_co_u32 v23, vcc_lo, v203, v23
	v_lshlrev_b64_e32 v[25:26], 4, v[36:37]
	s_wait_alu 0xfffd
	v_add_co_ci_u32_e32 v24, vcc_lo, v204, v24, vcc_lo
	s_delay_alu instid0(VALU_DEP_4)
	v_add_co_u32 v21, vcc_lo, v203, v21
	s_wait_alu 0xfffd
	v_add_co_ci_u32_e32 v22, vcc_lo, v204, v22, vcc_lo
	v_add_co_u32 v25, vcc_lo, v203, v25
	s_wait_alu 0xfffd
	v_add_co_ci_u32_e32 v26, vcc_lo, v204, v26, vcc_lo
	s_clause 0x4
	global_store_b128 v[17:18], v[0:3], off
	global_store_b128 v[19:20], v[136:139], off
	;; [unrolled: 1-line block ×5, first 2 shown]
.LBB0_23:
	s_endpgm
	.section	.rodata,"a",@progbits
	.p2align	6, 0x0
	.amdhsa_kernel fft_rtc_back_len2023_factors_17_7_17_wgs_119_tpt_119_halfLds_dp_ip_CI_sbrr_dirReg
		.amdhsa_group_segment_fixed_size 0
		.amdhsa_private_segment_fixed_size 196
		.amdhsa_kernarg_size 88
		.amdhsa_user_sgpr_count 2
		.amdhsa_user_sgpr_dispatch_ptr 0
		.amdhsa_user_sgpr_queue_ptr 0
		.amdhsa_user_sgpr_kernarg_segment_ptr 1
		.amdhsa_user_sgpr_dispatch_id 0
		.amdhsa_user_sgpr_private_segment_size 0
		.amdhsa_wavefront_size32 1
		.amdhsa_uses_dynamic_stack 0
		.amdhsa_enable_private_segment 1
		.amdhsa_system_sgpr_workgroup_id_x 1
		.amdhsa_system_sgpr_workgroup_id_y 0
		.amdhsa_system_sgpr_workgroup_id_z 0
		.amdhsa_system_sgpr_workgroup_info 0
		.amdhsa_system_vgpr_workitem_id 0
		.amdhsa_next_free_vgpr 255
		.amdhsa_next_free_sgpr 58
		.amdhsa_reserve_vcc 1
		.amdhsa_float_round_mode_32 0
		.amdhsa_float_round_mode_16_64 0
		.amdhsa_float_denorm_mode_32 3
		.amdhsa_float_denorm_mode_16_64 3
		.amdhsa_fp16_overflow 0
		.amdhsa_workgroup_processor_mode 1
		.amdhsa_memory_ordered 1
		.amdhsa_forward_progress 0
		.amdhsa_round_robin_scheduling 0
		.amdhsa_exception_fp_ieee_invalid_op 0
		.amdhsa_exception_fp_denorm_src 0
		.amdhsa_exception_fp_ieee_div_zero 0
		.amdhsa_exception_fp_ieee_overflow 0
		.amdhsa_exception_fp_ieee_underflow 0
		.amdhsa_exception_fp_ieee_inexact 0
		.amdhsa_exception_int_div_zero 0
	.end_amdhsa_kernel
	.text
.Lfunc_end0:
	.size	fft_rtc_back_len2023_factors_17_7_17_wgs_119_tpt_119_halfLds_dp_ip_CI_sbrr_dirReg, .Lfunc_end0-fft_rtc_back_len2023_factors_17_7_17_wgs_119_tpt_119_halfLds_dp_ip_CI_sbrr_dirReg
                                        ; -- End function
	.section	.AMDGPU.csdata,"",@progbits
; Kernel info:
; codeLenInByte = 18468
; NumSgprs: 60
; NumVgprs: 255
; ScratchSize: 196
; MemoryBound: 1
; FloatMode: 240
; IeeeMode: 1
; LDSByteSize: 0 bytes/workgroup (compile time only)
; SGPRBlocks: 7
; VGPRBlocks: 31
; NumSGPRsForWavesPerEU: 60
; NumVGPRsForWavesPerEU: 255
; Occupancy: 5
; WaveLimiterHint : 1
; COMPUTE_PGM_RSRC2:SCRATCH_EN: 1
; COMPUTE_PGM_RSRC2:USER_SGPR: 2
; COMPUTE_PGM_RSRC2:TRAP_HANDLER: 0
; COMPUTE_PGM_RSRC2:TGID_X_EN: 1
; COMPUTE_PGM_RSRC2:TGID_Y_EN: 0
; COMPUTE_PGM_RSRC2:TGID_Z_EN: 0
; COMPUTE_PGM_RSRC2:TIDIG_COMP_CNT: 0
	.text
	.p2alignl 7, 3214868480
	.fill 96, 4, 3214868480
	.type	__hip_cuid_bdeab1f191755435,@object ; @__hip_cuid_bdeab1f191755435
	.section	.bss,"aw",@nobits
	.globl	__hip_cuid_bdeab1f191755435
__hip_cuid_bdeab1f191755435:
	.byte	0                               ; 0x0
	.size	__hip_cuid_bdeab1f191755435, 1

	.ident	"AMD clang version 19.0.0git (https://github.com/RadeonOpenCompute/llvm-project roc-6.4.0 25133 c7fe45cf4b819c5991fe208aaa96edf142730f1d)"
	.section	".note.GNU-stack","",@progbits
	.addrsig
	.addrsig_sym __hip_cuid_bdeab1f191755435
	.amdgpu_metadata
---
amdhsa.kernels:
  - .args:
      - .actual_access:  read_only
        .address_space:  global
        .offset:         0
        .size:           8
        .value_kind:     global_buffer
      - .offset:         8
        .size:           8
        .value_kind:     by_value
      - .actual_access:  read_only
        .address_space:  global
        .offset:         16
        .size:           8
        .value_kind:     global_buffer
      - .actual_access:  read_only
        .address_space:  global
        .offset:         24
        .size:           8
        .value_kind:     global_buffer
      - .offset:         32
        .size:           8
        .value_kind:     by_value
      - .actual_access:  read_only
        .address_space:  global
        .offset:         40
        .size:           8
        .value_kind:     global_buffer
      - .actual_access:  read_only
        .address_space:  global
        .offset:         48
        .size:           8
        .value_kind:     global_buffer
      - .offset:         56
        .size:           4
        .value_kind:     by_value
      - .actual_access:  read_only
        .address_space:  global
        .offset:         64
        .size:           8
        .value_kind:     global_buffer
      - .actual_access:  read_only
        .address_space:  global
        .offset:         72
        .size:           8
        .value_kind:     global_buffer
      - .address_space:  global
        .offset:         80
        .size:           8
        .value_kind:     global_buffer
    .group_segment_fixed_size: 0
    .kernarg_segment_align: 8
    .kernarg_segment_size: 88
    .language:       OpenCL C
    .language_version:
      - 2
      - 0
    .max_flat_workgroup_size: 119
    .name:           fft_rtc_back_len2023_factors_17_7_17_wgs_119_tpt_119_halfLds_dp_ip_CI_sbrr_dirReg
    .private_segment_fixed_size: 196
    .sgpr_count:     60
    .sgpr_spill_count: 0
    .symbol:         fft_rtc_back_len2023_factors_17_7_17_wgs_119_tpt_119_halfLds_dp_ip_CI_sbrr_dirReg.kd
    .uniform_work_group_size: 1
    .uses_dynamic_stack: false
    .vgpr_count:     255
    .vgpr_spill_count: 48
    .wavefront_size: 32
    .workgroup_processor_mode: 1
amdhsa.target:   amdgcn-amd-amdhsa--gfx1201
amdhsa.version:
  - 1
  - 2
...

	.end_amdgpu_metadata
